;; amdgpu-corpus repo=ROCm/rocFFT kind=compiled arch=gfx950 opt=O3
	.text
	.amdgcn_target "amdgcn-amd-amdhsa--gfx950"
	.amdhsa_code_object_version 6
	.protected	fft_rtc_back_len1890_factors_2_3_3_3_7_5_wgs_126_tpt_126_halfLds_sp_ip_CI_sbrr_dirReg ; -- Begin function fft_rtc_back_len1890_factors_2_3_3_3_7_5_wgs_126_tpt_126_halfLds_sp_ip_CI_sbrr_dirReg
	.globl	fft_rtc_back_len1890_factors_2_3_3_3_7_5_wgs_126_tpt_126_halfLds_sp_ip_CI_sbrr_dirReg
	.p2align	8
	.type	fft_rtc_back_len1890_factors_2_3_3_3_7_5_wgs_126_tpt_126_halfLds_sp_ip_CI_sbrr_dirReg,@function
fft_rtc_back_len1890_factors_2_3_3_3_7_5_wgs_126_tpt_126_halfLds_sp_ip_CI_sbrr_dirReg: ; @fft_rtc_back_len1890_factors_2_3_3_3_7_5_wgs_126_tpt_126_halfLds_sp_ip_CI_sbrr_dirReg
; %bb.0:
	s_load_dwordx2 s[12:13], s[0:1], 0x18
	s_load_dwordx4 s[4:7], s[0:1], 0x0
	s_load_dwordx2 s[10:11], s[0:1], 0x50
	v_mul_u32_u24_e32 v1, 0x209, v0
	v_add_u32_sdwa v6, s2, v1 dst_sel:DWORD dst_unused:UNUSED_PAD src0_sel:DWORD src1_sel:WORD_1
	s_waitcnt lgkmcnt(0)
	s_load_dwordx2 s[8:9], s[12:13], 0x0
	v_mov_b32_e32 v4, 0
	v_cmp_lt_u64_e64 s[2:3], s[6:7], 2
	v_mov_b32_e32 v7, v4
	s_and_b64 vcc, exec, s[2:3]
	v_mov_b64_e32 v[2:3], 0
	s_cbranch_vccnz .LBB0_8
; %bb.1:
	s_load_dwordx2 s[2:3], s[0:1], 0x10
	s_add_u32 s14, s12, 8
	s_addc_u32 s15, s13, 0
	s_mov_b64 s[16:17], 1
	v_mov_b64_e32 v[2:3], 0
	s_waitcnt lgkmcnt(0)
	s_add_u32 s18, s2, 8
	s_addc_u32 s19, s3, 0
.LBB0_2:                                ; =>This Inner Loop Header: Depth=1
	s_load_dwordx2 s[20:21], s[18:19], 0x0
                                        ; implicit-def: $vgpr8_vgpr9
	s_waitcnt lgkmcnt(0)
	v_or_b32_e32 v5, s21, v7
	v_cmp_ne_u64_e32 vcc, 0, v[4:5]
	s_and_saveexec_b64 s[2:3], vcc
	s_xor_b64 s[22:23], exec, s[2:3]
	s_cbranch_execz .LBB0_4
; %bb.3:                                ;   in Loop: Header=BB0_2 Depth=1
	v_cvt_f32_u32_e32 v1, s20
	v_cvt_f32_u32_e32 v5, s21
	s_sub_u32 s2, 0, s20
	s_subb_u32 s3, 0, s21
	v_fmac_f32_e32 v1, 0x4f800000, v5
	v_rcp_f32_e32 v1, v1
	s_nop 0
	v_mul_f32_e32 v1, 0x5f7ffffc, v1
	v_mul_f32_e32 v5, 0x2f800000, v1
	v_trunc_f32_e32 v5, v5
	v_fmac_f32_e32 v1, 0xcf800000, v5
	v_cvt_u32_f32_e32 v5, v5
	v_cvt_u32_f32_e32 v1, v1
	v_mul_lo_u32 v8, s2, v5
	v_mul_hi_u32 v10, s2, v1
	v_mul_lo_u32 v9, s3, v1
	v_add_u32_e32 v10, v10, v8
	v_mul_lo_u32 v12, s2, v1
	v_add_u32_e32 v13, v10, v9
	v_mul_hi_u32 v8, v1, v12
	v_mul_hi_u32 v11, v1, v13
	v_mul_lo_u32 v10, v1, v13
	v_mov_b32_e32 v9, v4
	v_lshl_add_u64 v[8:9], v[8:9], 0, v[10:11]
	v_mul_hi_u32 v11, v5, v12
	v_mul_lo_u32 v12, v5, v12
	v_add_co_u32_e32 v8, vcc, v8, v12
	v_mul_hi_u32 v10, v5, v13
	s_nop 0
	v_addc_co_u32_e32 v8, vcc, v9, v11, vcc
	v_mov_b32_e32 v9, v4
	s_nop 0
	v_addc_co_u32_e32 v11, vcc, 0, v10, vcc
	v_mul_lo_u32 v10, v5, v13
	v_lshl_add_u64 v[8:9], v[8:9], 0, v[10:11]
	v_add_co_u32_e32 v1, vcc, v1, v8
	v_mul_lo_u32 v10, s2, v1
	s_nop 0
	v_addc_co_u32_e32 v5, vcc, v5, v9, vcc
	v_mul_lo_u32 v8, s2, v5
	v_mul_hi_u32 v9, s2, v1
	v_add_u32_e32 v8, v9, v8
	v_mul_lo_u32 v9, s3, v1
	v_add_u32_e32 v12, v8, v9
	v_mul_hi_u32 v14, v5, v10
	v_mul_lo_u32 v15, v5, v10
	v_mul_hi_u32 v9, v1, v12
	v_mul_lo_u32 v8, v1, v12
	v_mul_hi_u32 v10, v1, v10
	v_mov_b32_e32 v11, v4
	v_lshl_add_u64 v[8:9], v[10:11], 0, v[8:9]
	v_add_co_u32_e32 v8, vcc, v8, v15
	v_mul_hi_u32 v13, v5, v12
	s_nop 0
	v_addc_co_u32_e32 v8, vcc, v9, v14, vcc
	v_mul_lo_u32 v10, v5, v12
	s_nop 0
	v_addc_co_u32_e32 v11, vcc, 0, v13, vcc
	v_mov_b32_e32 v9, v4
	v_lshl_add_u64 v[8:9], v[8:9], 0, v[10:11]
	v_add_co_u32_e32 v1, vcc, v1, v8
	v_mul_hi_u32 v10, v6, v1
	s_nop 0
	v_addc_co_u32_e32 v5, vcc, v5, v9, vcc
	v_mad_u64_u32 v[8:9], s[2:3], v6, v5, 0
	v_mov_b32_e32 v11, v4
	v_lshl_add_u64 v[8:9], v[10:11], 0, v[8:9]
	v_mad_u64_u32 v[12:13], s[2:3], v7, v1, 0
	v_add_co_u32_e32 v1, vcc, v8, v12
	v_mad_u64_u32 v[10:11], s[2:3], v7, v5, 0
	s_nop 0
	v_addc_co_u32_e32 v8, vcc, v9, v13, vcc
	v_mov_b32_e32 v9, v4
	s_nop 0
	v_addc_co_u32_e32 v11, vcc, 0, v11, vcc
	v_lshl_add_u64 v[8:9], v[8:9], 0, v[10:11]
	v_mul_lo_u32 v1, s21, v8
	v_mul_lo_u32 v5, s20, v9
	v_mad_u64_u32 v[10:11], s[2:3], s20, v8, 0
	v_add3_u32 v1, v11, v5, v1
	v_sub_u32_e32 v5, v7, v1
	v_mov_b32_e32 v11, s21
	v_sub_co_u32_e32 v14, vcc, v6, v10
	v_lshl_add_u64 v[12:13], v[8:9], 0, 1
	s_nop 0
	v_subb_co_u32_e64 v5, s[2:3], v5, v11, vcc
	v_subrev_co_u32_e64 v10, s[2:3], s20, v14
	v_subb_co_u32_e32 v1, vcc, v7, v1, vcc
	s_nop 0
	v_subbrev_co_u32_e64 v5, s[2:3], 0, v5, s[2:3]
	v_cmp_le_u32_e64 s[2:3], s21, v5
	v_cmp_le_u32_e32 vcc, s21, v1
	s_nop 0
	v_cndmask_b32_e64 v11, 0, -1, s[2:3]
	v_cmp_le_u32_e64 s[2:3], s20, v10
	s_nop 1
	v_cndmask_b32_e64 v10, 0, -1, s[2:3]
	v_cmp_eq_u32_e64 s[2:3], s21, v5
	s_nop 1
	v_cndmask_b32_e64 v5, v11, v10, s[2:3]
	v_lshl_add_u64 v[10:11], v[8:9], 0, 2
	v_cmp_ne_u32_e64 s[2:3], 0, v5
	s_nop 1
	v_cndmask_b32_e64 v5, v13, v11, s[2:3]
	v_cndmask_b32_e64 v11, 0, -1, vcc
	v_cmp_le_u32_e32 vcc, s20, v14
	s_nop 1
	v_cndmask_b32_e64 v13, 0, -1, vcc
	v_cmp_eq_u32_e32 vcc, s21, v1
	s_nop 1
	v_cndmask_b32_e32 v1, v11, v13, vcc
	v_cmp_ne_u32_e32 vcc, 0, v1
	v_cndmask_b32_e64 v1, v12, v10, s[2:3]
	s_nop 0
	v_cndmask_b32_e32 v9, v9, v5, vcc
	v_cndmask_b32_e32 v8, v8, v1, vcc
.LBB0_4:                                ;   in Loop: Header=BB0_2 Depth=1
	s_andn2_saveexec_b64 s[2:3], s[22:23]
	s_cbranch_execz .LBB0_6
; %bb.5:                                ;   in Loop: Header=BB0_2 Depth=1
	v_cvt_f32_u32_e32 v1, s20
	s_sub_i32 s22, 0, s20
	v_rcp_iflag_f32_e32 v1, v1
	s_nop 0
	v_mul_f32_e32 v1, 0x4f7ffffe, v1
	v_cvt_u32_f32_e32 v1, v1
	v_mul_lo_u32 v5, s22, v1
	v_mul_hi_u32 v5, v1, v5
	v_add_u32_e32 v1, v1, v5
	v_mul_hi_u32 v1, v6, v1
	v_mul_lo_u32 v5, v1, s20
	v_sub_u32_e32 v5, v6, v5
	v_add_u32_e32 v8, 1, v1
	v_subrev_u32_e32 v9, s20, v5
	v_cmp_le_u32_e32 vcc, s20, v5
	s_nop 1
	v_cndmask_b32_e32 v5, v5, v9, vcc
	v_cndmask_b32_e32 v1, v1, v8, vcc
	v_add_u32_e32 v8, 1, v1
	v_cmp_le_u32_e32 vcc, s20, v5
	v_mov_b32_e32 v9, v4
	s_nop 0
	v_cndmask_b32_e32 v8, v1, v8, vcc
.LBB0_6:                                ;   in Loop: Header=BB0_2 Depth=1
	s_or_b64 exec, exec, s[2:3]
	v_mad_u64_u32 v[10:11], s[2:3], v8, s20, 0
	s_load_dwordx2 s[2:3], s[14:15], 0x0
	v_mul_lo_u32 v1, v9, s20
	v_mul_lo_u32 v5, v8, s21
	v_add3_u32 v1, v11, v5, v1
	v_sub_co_u32_e32 v5, vcc, v6, v10
	s_add_u32 s16, s16, 1
	s_nop 0
	v_subb_co_u32_e32 v1, vcc, v7, v1, vcc
	s_addc_u32 s17, s17, 0
	s_waitcnt lgkmcnt(0)
	v_mul_lo_u32 v1, s2, v1
	v_mul_lo_u32 v6, s3, v5
	v_mad_u64_u32 v[2:3], s[2:3], s2, v5, v[2:3]
	s_add_u32 s14, s14, 8
	v_add3_u32 v3, v6, v3, v1
	s_addc_u32 s15, s15, 0
	v_mov_b64_e32 v[6:7], s[6:7]
	s_add_u32 s18, s18, 8
	v_cmp_ge_u64_e32 vcc, s[16:17], v[6:7]
	s_addc_u32 s19, s19, 0
	s_cbranch_vccnz .LBB0_9
; %bb.7:                                ;   in Loop: Header=BB0_2 Depth=1
	v_mov_b64_e32 v[6:7], v[8:9]
	s_branch .LBB0_2
.LBB0_8:
	v_mov_b64_e32 v[8:9], v[6:7]
.LBB0_9:
	s_lshl_b64 s[2:3], s[6:7], 3
	s_add_u32 s2, s12, s2
	s_addc_u32 s3, s13, s3
	s_load_dwordx2 s[6:7], s[2:3], 0x0
	s_load_dwordx2 s[12:13], s[0:1], 0x20
	s_mov_b32 s2, 0x2082083
                                        ; implicit-def: $vgpr10_vgpr11
                                        ; implicit-def: $vgpr41
                                        ; implicit-def: $vgpr40
                                        ; implicit-def: $vgpr39
                                        ; implicit-def: $vgpr38
	s_waitcnt lgkmcnt(0)
	v_mul_lo_u32 v1, s6, v9
	v_mul_lo_u32 v6, s7, v8
	v_mad_u64_u32 v[4:5], s[0:1], s6, v8, v[2:3]
	v_add3_u32 v5, v6, v5, v1
	v_mul_hi_u32 v1, v0, s2
	v_mul_u32_u24_e32 v1, 0x7e, v1
	v_cmp_gt_u64_e32 vcc, s[12:13], v[8:9]
	v_cmp_le_u64_e64 s[0:1], s[12:13], v[8:9]
	v_sub_u32_e32 v36, v0, v1
                                        ; implicit-def: $sgpr6
	s_and_saveexec_b64 s[2:3], s[0:1]
	s_xor_b64 s[0:1], exec, s[2:3]
; %bb.10:
	v_add_u32_e32 v41, 0x7e, v36
	v_add_u32_e32 v40, 0xfc, v36
	;; [unrolled: 1-line block ×6, first 2 shown]
	s_mov_b32 s6, 0
; %bb.11:
	s_or_saveexec_b64 s[2:3], s[0:1]
	v_mov_b32_e32 v2, s6
	v_lshl_add_u64 v[0:1], v[4:5], 3, s[10:11]
	v_mov_b32_e32 v3, s6
                                        ; implicit-def: $vgpr32
                                        ; implicit-def: $vgpr16
                                        ; implicit-def: $vgpr6
                                        ; implicit-def: $vgpr8
                                        ; implicit-def: $vgpr4
                                        ; implicit-def: $vgpr14
                                        ; implicit-def: $vgpr12
                                        ; implicit-def: $vgpr18
                                        ; implicit-def: $vgpr20
                                        ; implicit-def: $vgpr22
                                        ; implicit-def: $vgpr24
                                        ; implicit-def: $vgpr28
                                        ; implicit-def: $vgpr26
                                        ; implicit-def: $vgpr30
                                        ; implicit-def: $vgpr34
	s_xor_b64 exec, exec, s[2:3]
	s_cbranch_execz .LBB0_15
; %bb.12:
	v_mad_u64_u32 v[2:3], s[0:1], s8, v36, 0
	v_mov_b32_e32 v4, v3
	v_mad_u64_u32 v[4:5], s[0:1], s9, v36, v[4:5]
	v_add_u32_e32 v7, 0x3b1, v36
	v_mov_b32_e32 v3, v4
	v_mad_u64_u32 v[4:5], s[0:1], s8, v7, 0
	v_mov_b32_e32 v6, v5
	v_mad_u64_u32 v[6:7], s[0:1], s9, v7, v[6:7]
	v_mov_b32_e32 v5, v6
	v_add_u32_e32 v41, 0x7e, v36
	v_lshl_add_u64 v[8:9], v[4:5], 3, v[0:1]
	v_mad_u64_u32 v[4:5], s[0:1], s8, v41, 0
	v_mov_b32_e32 v6, v5
	v_mad_u64_u32 v[6:7], s[0:1], s9, v41, v[6:7]
	v_mov_b32_e32 v5, v6
	v_add_u32_e32 v7, 0x42f, v36
	v_lshl_add_u64 v[10:11], v[4:5], 3, v[0:1]
	v_mad_u64_u32 v[4:5], s[0:1], s8, v7, 0
	v_mov_b32_e32 v6, v5
	v_mad_u64_u32 v[6:7], s[0:1], s9, v7, v[6:7]
	v_lshl_add_u64 v[2:3], v[2:3], 3, v[0:1]
	v_mov_b32_e32 v5, v6
	v_add_u32_e32 v40, 0xfc, v36
	v_lshl_add_u64 v[16:17], v[4:5], 3, v[0:1]
	global_load_dwordx2 v[4:5], v[2:3], off
	global_load_dwordx2 v[14:15], v[8:9], off
	;; [unrolled: 1-line block ×4, first 2 shown]
	v_mad_u64_u32 v[2:3], s[0:1], s8, v40, 0
	v_mov_b32_e32 v8, v3
	v_mad_u64_u32 v[8:9], s[0:1], s9, v40, v[8:9]
	v_add_u32_e32 v11, 0x4ad, v36
	v_mov_b32_e32 v3, v8
	v_mad_u64_u32 v[8:9], s[0:1], s8, v11, 0
	v_mov_b32_e32 v10, v9
	v_mad_u64_u32 v[10:11], s[0:1], s9, v11, v[10:11]
	v_mov_b32_e32 v9, v10
	v_add_u32_e32 v10, 0x17a, v36
	v_mad_u64_u32 v[16:17], s[0:1], s8, v10, 0
	v_mov_b32_e32 v18, v17
	v_mad_u64_u32 v[18:19], s[0:1], s9, v10, v[18:19]
	v_mov_b32_e32 v17, v18
	v_add_u32_e32 v19, 0x52b, v36
	v_lshl_add_u64 v[24:25], v[16:17], 3, v[0:1]
	v_mad_u64_u32 v[16:17], s[0:1], s8, v19, 0
	v_mov_b32_e32 v18, v17
	v_mad_u64_u32 v[18:19], s[0:1], s9, v19, v[18:19]
	v_lshl_add_u64 v[2:3], v[2:3], 3, v[0:1]
	v_add_u32_e32 v11, 0x1f8, v36
	v_mov_b32_e32 v17, v18
	v_lshl_add_u64 v[8:9], v[8:9], 3, v[0:1]
	v_lshl_add_u64 v[26:27], v[16:17], 3, v[0:1]
	global_load_dwordx2 v[18:19], v[2:3], off
	global_load_dwordx2 v[16:17], v[8:9], off
	;; [unrolled: 1-line block ×4, first 2 shown]
	v_mad_u64_u32 v[2:3], s[0:1], s8, v11, 0
	v_mov_b32_e32 v8, v3
	v_mad_u64_u32 v[8:9], s[0:1], s9, v11, v[8:9]
	v_add_u32_e32 v25, 0x5a9, v36
	v_mov_b32_e32 v3, v8
	v_mad_u64_u32 v[8:9], s[0:1], s8, v25, 0
	v_mov_b32_e32 v24, v9
	v_mad_u64_u32 v[24:25], s[0:1], s9, v25, v[24:25]
	v_add_u32_e32 v39, 0x276, v36
	v_mov_b32_e32 v9, v24
	v_mad_u64_u32 v[24:25], s[0:1], s8, v39, 0
	v_mov_b32_e32 v26, v25
	v_mad_u64_u32 v[26:27], s[0:1], s9, v39, v[26:27]
	v_mov_b32_e32 v25, v26
	v_add_u32_e32 v27, 0x627, v36
	v_lshl_add_u64 v[32:33], v[24:25], 3, v[0:1]
	v_mad_u64_u32 v[24:25], s[0:1], s8, v27, 0
	v_mov_b32_e32 v26, v25
	v_mad_u64_u32 v[26:27], s[0:1], s9, v27, v[26:27]
	v_lshl_add_u64 v[2:3], v[2:3], 3, v[0:1]
	v_mov_b32_e32 v25, v26
	v_add_u32_e32 v38, 0x2f4, v36
	v_lshl_add_u64 v[8:9], v[8:9], 3, v[0:1]
	v_lshl_add_u64 v[34:35], v[24:25], 3, v[0:1]
	global_load_dwordx2 v[24:25], v[2:3], off
	global_load_dwordx2 v[28:29], v[8:9], off
	;; [unrolled: 1-line block ×4, first 2 shown]
	v_mad_u64_u32 v[2:3], s[0:1], s8, v38, 0
	v_mov_b32_e32 v8, v3
	v_mad_u64_u32 v[8:9], s[0:1], s9, v38, v[8:9]
	v_add_u32_e32 v33, 0x6a5, v36
	v_mov_b32_e32 v3, v8
	v_mad_u64_u32 v[8:9], s[0:1], s8, v33, 0
	v_mov_b32_e32 v32, v9
	v_mad_u64_u32 v[32:33], s[0:1], s9, v33, v[32:33]
	v_lshl_add_u64 v[2:3], v[2:3], 3, v[0:1]
	v_mov_b32_e32 v9, v32
	v_lshl_add_u64 v[8:9], v[8:9], 3, v[0:1]
	global_load_dwordx2 v[34:35], v[2:3], off
	global_load_dwordx2 v[32:33], v[8:9], off
	v_cmp_gt_u32_e64 s[0:1], 63, v36
	v_mov_b32_e32 v3, 0
	v_mov_b32_e32 v2, 0
                                        ; implicit-def: $vgpr9
	s_and_saveexec_b64 s[6:7], s[0:1]
	s_cbranch_execz .LBB0_14
; %bb.13:
	v_add_u32_e32 v9, 0x372, v36
	v_mad_u64_u32 v[2:3], s[0:1], s8, v9, 0
	v_mov_b32_e32 v8, v3
	v_mad_u64_u32 v[8:9], s[0:1], s9, v9, v[8:9]
	v_mov_b32_e32 v3, v8
	v_add_u32_e32 v9, 0x723, v36
	v_lshl_add_u64 v[42:43], v[2:3], 3, v[0:1]
	v_mad_u64_u32 v[2:3], s[0:1], s8, v9, 0
	v_mov_b32_e32 v8, v3
	v_mad_u64_u32 v[8:9], s[0:1], s9, v9, v[8:9]
	v_mov_b32_e32 v3, v8
	v_lshl_add_u64 v[44:45], v[2:3], 3, v[0:1]
	global_load_dwordx2 v[2:3], v[42:43], off
	global_load_dwordx2 v[8:9], v[44:45], off
.LBB0_14:
	s_or_b64 exec, exec, s[6:7]
.LBB0_15:
	s_or_b64 exec, exec, s[2:3]
	s_waitcnt vmcnt(12)
	v_sub_f32_e32 v43, v4, v14
	s_waitcnt vmcnt(10)
	v_sub_f32_e32 v47, v12, v6
	v_fma_f32 v42, v4, 2.0, -v43
	v_fma_f32 v46, v12, 2.0, -v47
	s_waitcnt vmcnt(8)
	v_sub_f32_e32 v49, v18, v16
	s_waitcnt vmcnt(6)
	v_sub_f32_e32 v51, v20, v22
	;; [unrolled: 2-line block ×5, first 2 shown]
	v_lshl_add_u32 v44, v36, 3, 0
	v_lshl_add_u32 v30, v41, 3, 0
	v_add_u32_e32 v37, 0x372, v36
	v_fma_f32 v48, v18, 2.0, -v49
	v_fma_f32 v50, v20, 2.0, -v51
	;; [unrolled: 1-line block ×5, first 2 shown]
	v_pk_add_f32 v[8:9], v[2:3], v[8:9] neg_lo:[0,1] neg_hi:[0,1]
	ds_write_b64 v44, v[42:43]
	ds_write_b64 v30, v[46:47]
	v_lshl_add_u32 v32, v40, 3, 0
	v_lshl_add_u32 v42, v10, 3, 0
	v_lshl_add_u32 v43, v11, 3, 0
	v_lshl_add_u32 v22, v39, 3, 0
	v_lshl_add_u32 v46, v38, 3, 0
	v_cmp_gt_u32_e64 s[0:1], 63, v36
	v_lshl_add_u32 v45, v37, 3, 0
	ds_write_b64 v32, v[48:49]
	ds_write_b64 v42, v[50:51]
	;; [unrolled: 1-line block ×5, first 2 shown]
	s_and_saveexec_b64 s[2:3], s[0:1]
	s_cbranch_execz .LBB0_17
; %bb.16:
	v_fma_f32 v48, v2, 2.0, -v8
	v_mov_b32_e32 v49, v8
	ds_write_b64 v45, v[48:49]
.LBB0_17:
	s_or_b64 exec, exec, s[2:3]
	v_lshlrev_b32_e32 v6, 2, v36
	v_lshlrev_b32_e32 v2, 2, v39
	v_sub_f32_e32 v49, v5, v15
	v_sub_f32_e32 v51, v13, v7
	;; [unrolled: 1-line block ×5, first 2 shown]
	v_sub_u32_e32 v34, v44, v6
	v_sub_u32_e32 v23, 0, v2
	;; [unrolled: 1-line block ×3, first 2 shown]
	v_lshlrev_b32_e32 v2, 2, v41
	v_lshlrev_b32_e32 v4, 2, v40
	;; [unrolled: 1-line block ×3, first 2 shown]
	v_fma_f32 v48, v5, 2.0, -v49
	v_sub_f32_e32 v53, v19, v17
	v_fma_f32 v54, v21, 2.0, -v55
	v_fma_f32 v56, v25, 2.0, -v57
	;; [unrolled: 1-line block ×3, first 2 shown]
	v_add_u32_e32 v5, 0x1200, v34
	v_sub_u32_e32 v25, v30, v2
	v_add_u32_e32 v21, 0xa00, v34
	v_sub_u32_e32 v26, v32, v4
	;; [unrolled: 2-line block ×3, first 2 shown]
	v_sub_u32_e32 v31, v42, v7
	v_add_u32_e32 v7, 0xe00, v34
	v_lshlrev_b32_e32 v27, 2, v11
	v_fma_f32 v50, v13, 2.0, -v51
	v_fma_f32 v52, v19, 2.0, -v53
	s_waitcnt lgkmcnt(0)
	s_barrier
	ds_read_b32 v24, v34
	ds_read2_b32 v[14:15], v5 offset0:108 offset1:234
	ds_read2_b32 v[16:17], v21 offset0:116 offset1:242
	;; [unrolled: 1-line block ×4, first 2 shown]
	v_sub_u32_e32 v47, 0, v27
	v_sub_u32_e32 v62, v43, v27
	ds_read_b32 v28, v25
	ds_read_b32 v27, v26
	ds_read_b32 v26, v31
	ds_read_b32 v25, v62
	ds_read_b32 v31, v29
	ds_read_b32 v29, v34 offset:7056
	v_sub_f32_e32 v61, v35, v33
	v_fma_f32 v60, v35, 2.0, -v61
	v_sub_u32_e32 v33, 0, v2
	v_sub_u32_e32 v35, 0, v4
	s_waitcnt lgkmcnt(0)
	s_barrier
	ds_write_b64 v44, v[48:49]
	ds_write_b64 v30, v[50:51]
	;; [unrolled: 1-line block ×7, first 2 shown]
	s_and_saveexec_b64 s[2:3], s[0:1]
	s_cbranch_execz .LBB0_19
; %bb.18:
	v_fma_f32 v48, v3, 2.0, -v9
	v_mov_b32_e32 v49, v9
	ds_write_b64 v45, v[48:49]
.LBB0_19:
	s_or_b64 exec, exec, s[2:3]
	v_and_b32_e32 v46, 1, v36
	v_lshlrev_b32_e32 v3, 4, v46
	s_waitcnt lgkmcnt(0)
	s_barrier
	global_load_dwordx4 v[48:51], v3, s[4:5]
	ds_read2_b32 v[44:45], v5 offset0:108 offset1:234
	v_add_u32_e32 v22, v22, v23
	v_add_u32_e32 v3, v30, v33
	ds_read2_b32 v[52:53], v21 offset0:116 offset1:242
	v_add_u32_e32 v35, v32, v35
	ds_read2_b32 v[32:33], v20 offset0:104 offset1:230
	ds_read_b32 v56, v34
	v_add_u32_e32 v39, v42, v39
	ds_read2_b32 v[54:55], v7 offset0:112 offset1:238
	v_add_u32_e32 v23, v43, v47
	ds_read_b32 v30, v22
	ds_read_b32 v42, v3
	;; [unrolled: 1-line block ×5, first 2 shown]
	ds_read_b32 v47, v34 offset:7056
	s_waitcnt lgkmcnt(0)
	s_barrier
	s_movk_i32 s0, 0xab
	s_movk_i32 s1, 0x48
	s_waitcnt vmcnt(0)
	v_mul_f32_e32 v59, v30, v49
	v_mul_f32_e32 v61, v44, v51
	;; [unrolled: 1-line block ×10, first 2 shown]
	v_fmac_f32_e32 v61, v14, v50
	v_fmac_f32_e32 v59, v31, v48
	v_mul_f32_e32 v67, v53, v49
	v_mul_f32_e32 v68, v17, v49
	;; [unrolled: 1-line block ×10, first 2 shown]
	v_fmac_f32_e32 v65, v15, v50
	v_fma_f32 v14, v44, v50, -v62
	v_fma_f32 v15, v45, v50, -v66
	v_fmac_f32_e32 v63, v16, v48
	v_fma_f32 v16, v52, v48, -v64
	v_fma_f32 v30, v30, v48, -v60
	v_fmac_f32_e32 v69, v12, v50
	v_fma_f32 v12, v32, v50, -v70
	v_add_f32_e32 v32, v59, v61
	v_fmac_f32_e32 v67, v17, v48
	v_fmac_f32_e32 v73, v13, v50
	v_fma_f32 v13, v33, v50, -v74
	v_fmac_f32_e32 v75, v19, v48
	v_fma_f32 v19, v55, v48, -v49
	;; [unrolled: 2-line block ×3, first 2 shown]
	v_add_f32_e32 v31, v24, v59
	v_sub_f32_e32 v33, v30, v14
	v_add_f32_e32 v44, v56, v30
	v_add_f32_e32 v30, v30, v14
	;; [unrolled: 1-line block ×3, first 2 shown]
	v_sub_f32_e32 v49, v16, v15
	v_add_f32_e32 v50, v42, v16
	v_add_f32_e32 v16, v16, v15
	v_fmac_f32_e32 v24, -0.5, v32
	v_fma_f32 v17, v53, v48, -v68
	v_sub_f32_e32 v45, v59, v61
	v_fmac_f32_e32 v56, -0.5, v30
	v_add_f32_e32 v30, v47, v65
	v_fmac_f32_e32 v42, -0.5, v16
	v_fmamk_f32 v16, v33, 0xbf5db3d7, v24
	v_fmac_f32_e32 v24, 0x3f5db3d7, v33
	v_sub_f32_e32 v33, v63, v65
	v_add_f32_e32 v47, v67, v69
	v_fmac_f32_e32 v71, v18, v48
	v_fma_f32 v18, v54, v48, -v72
	v_add_f32_e32 v48, v63, v65
	v_add_f32_e32 v14, v44, v14
	v_fmamk_f32 v44, v45, 0x3f5db3d7, v56
	v_fmac_f32_e32 v56, 0xbf5db3d7, v45
	v_fmamk_f32 v45, v33, 0x3f5db3d7, v42
	v_fmac_f32_e32 v42, 0xbf5db3d7, v33
	v_add_f32_e32 v33, v27, v67
	v_fmac_f32_e32 v27, -0.5, v47
	v_sub_f32_e32 v47, v17, v12
	v_fmac_f32_e32 v28, -0.5, v48
	v_fmamk_f32 v48, v47, 0xbf5db3d7, v27
	v_fmac_f32_e32 v27, 0x3f5db3d7, v47
	v_add_f32_e32 v47, v43, v17
	v_add_f32_e32 v52, v47, v12
	;; [unrolled: 1-line block ×3, first 2 shown]
	v_fmac_f32_e32 v43, -0.5, v12
	v_sub_f32_e32 v12, v67, v69
	v_add_f32_e32 v47, v71, v73
	v_fmamk_f32 v17, v12, 0x3f5db3d7, v43
	v_fmac_f32_e32 v43, 0xbf5db3d7, v12
	v_add_f32_e32 v12, v26, v71
	v_fmac_f32_e32 v26, -0.5, v47
	v_sub_f32_e32 v47, v18, v13
	v_fmamk_f32 v32, v49, 0xbf5db3d7, v28
	v_fmac_f32_e32 v28, 0x3f5db3d7, v49
	v_fmamk_f32 v49, v47, 0xbf5db3d7, v26
	v_fmac_f32_e32 v26, 0x3f5db3d7, v47
	v_add_f32_e32 v47, v57, v18
	v_add_f32_e32 v53, v47, v13
	v_add_f32_e32 v13, v18, v13
	v_fmac_f32_e32 v57, -0.5, v13
	v_sub_f32_e32 v13, v71, v73
	v_add_f32_e32 v47, v75, v76
	v_fmamk_f32 v18, v13, 0x3f5db3d7, v57
	v_fmac_f32_e32 v57, 0xbf5db3d7, v13
	v_add_f32_e32 v13, v25, v75
	v_fmac_f32_e32 v25, -0.5, v47
	v_sub_f32_e32 v47, v19, v29
	v_add_f32_e32 v15, v50, v15
	v_fmamk_f32 v50, v47, 0xbf5db3d7, v25
	v_fmac_f32_e32 v25, 0x3f5db3d7, v47
	v_add_f32_e32 v47, v58, v19
	v_add_f32_e32 v19, v19, v29
	v_fmac_f32_e32 v58, -0.5, v19
	v_sub_f32_e32 v19, v75, v76
	v_add_f32_e32 v54, v47, v29
	v_fmamk_f32 v29, v19, 0x3f5db3d7, v58
	v_fmac_f32_e32 v58, 0xbf5db3d7, v19
	v_lshrrev_b32_e32 v19, 1, v36
	v_mul_u32_u24_e32 v19, 6, v19
	v_or_b32_e32 v19, v19, v46
	v_add_f32_e32 v31, v31, v61
	v_lshl_add_u32 v19, v19, 2, 0
	ds_write2_b32 v19, v31, v16 offset1:2
	ds_write_b32 v19, v24 offset:16
	v_lshrrev_b32_e32 v16, 1, v41
	v_lshrrev_b32_e32 v24, 1, v40
	v_mul_lo_u32 v16, v16, 6
	v_mul_lo_u32 v24, v24, 6
	v_or_b32_e32 v16, v16, v46
	v_or_b32_e32 v24, v24, v46
	v_add_f32_e32 v33, v33, v69
	v_lshl_add_u32 v16, v16, 2, 0
	v_lshl_add_u32 v24, v24, 2, 0
	ds_write2_b32 v16, v30, v32 offset1:2
	ds_write_b32 v16, v28 offset:16
	ds_write2_b32 v24, v33, v48 offset1:2
	ds_write_b32 v24, v27 offset:16
	v_lshrrev_b32_e32 v27, 1, v10
	v_mul_lo_u32 v27, v27, 6
	v_or_b32_e32 v27, v27, v46
	v_add_f32_e32 v12, v12, v73
	v_lshl_add_u32 v27, v27, 2, 0
	ds_write2_b32 v27, v12, v49 offset1:2
	ds_write_b32 v27, v26 offset:16
	v_lshrrev_b32_e32 v12, 1, v11
	v_mul_lo_u32 v12, v12, 6
	v_or_b32_e32 v12, v12, v46
	v_add_f32_e32 v13, v13, v76
	v_lshl_add_u32 v12, v12, 2, 0
	ds_write2_b32 v12, v13, v50 offset1:2
	ds_write_b32 v12, v25 offset:16
	s_waitcnt lgkmcnt(0)
	s_barrier
	ds_read_b32 v59, v34
	ds_read2_b32 v[32:33], v5 offset0:108 offset1:234
	ds_read2_b32 v[46:47], v21 offset0:116 offset1:242
	;; [unrolled: 1-line block ×4, first 2 shown]
	ds_read_b32 v60, v35
	ds_read_b32 v61, v39
	ds_read_b32 v62, v23
	ds_read_b32 v63, v3
	ds_read_b32 v64, v22
	ds_read_b32 v65, v34 offset:7056
	s_waitcnt lgkmcnt(0)
	s_barrier
	ds_write2_b32 v19, v14, v44 offset1:2
	ds_write_b32 v19, v56 offset:16
	ds_write2_b32 v16, v15, v45 offset1:2
	ds_write_b32 v16, v42 offset:16
	;; [unrolled: 2-line block ×5, first 2 shown]
	v_mul_lo_u16_sdwa v12, v36, s0 dst_sel:DWORD dst_unused:UNUSED_PAD src0_sel:BYTE_0 src1_sel:DWORD
	v_lshrrev_b16_e32 v56, 10, v12
	v_mul_lo_u16_e32 v12, 6, v56
	v_mul_lo_u16_sdwa v16, v41, s0 dst_sel:DWORD dst_unused:UNUSED_PAD src0_sel:BYTE_0 src1_sel:DWORD
	v_sub_u16_e32 v57, v36, v12
	v_mov_b32_e32 v58, 4
	v_lshrrev_b16_e32 v66, 10, v16
	v_lshlrev_b32_sdwa v12, v58, v57 dst_sel:DWORD dst_unused:UNUSED_PAD src0_sel:DWORD src1_sel:BYTE_0
	v_mul_lo_u16_e32 v16, 6, v66
	s_mov_b32 s0, 0xaaab
	s_waitcnt lgkmcnt(0)
	s_barrier
	global_load_dwordx4 v[12:15], v12, s[4:5] offset:32
	v_sub_u16_e32 v67, v41, v16
	v_mul_u32_u24_sdwa v24, v40, s0 dst_sel:DWORD dst_unused:UNUSED_PAD src0_sel:WORD_0 src1_sel:DWORD
	v_lshlrev_b32_sdwa v16, v58, v67 dst_sel:DWORD dst_unused:UNUSED_PAD src0_sel:DWORD src1_sel:BYTE_0
	global_load_dwordx4 v[16:19], v16, s[4:5] offset:32
	v_lshrrev_b32_e32 v68, 18, v24
	v_mul_lo_u16_e32 v24, 6, v68
	v_sub_u16_e32 v69, v40, v24
	v_lshlrev_b32_e32 v24, 4, v69
	global_load_dwordx4 v[24:27], v24, s[4:5] offset:32
	v_mul_u32_u24_sdwa v28, v10, s0 dst_sel:DWORD dst_unused:UNUSED_PAD src0_sel:WORD_0 src1_sel:DWORD
	v_lshrrev_b32_e32 v70, 18, v28
	v_mul_lo_u16_e32 v28, 6, v70
	v_mul_u32_u24_sdwa v42, v11, s0 dst_sel:DWORD dst_unused:UNUSED_PAD src0_sel:WORD_0 src1_sel:DWORD
	v_sub_u16_e32 v71, v10, v28
	v_lshrrev_b32_e32 v72, 18, v42
	v_lshlrev_b32_e32 v28, 4, v71
	global_load_dwordx4 v[28:31], v28, s[4:5] offset:32
	v_mul_lo_u16_e32 v42, 6, v72
	v_sub_u16_e32 v73, v11, v42
	v_lshlrev_b32_e32 v42, 4, v73
	global_load_dwordx4 v[42:45], v42, s[4:5] offset:32
	ds_read2_b32 v[52:53], v5 offset0:108 offset1:234
	ds_read2_b32 v[54:55], v21 offset0:116 offset1:242
	ds_read_b32 v74, v22
	ds_read_b32 v75, v3
	ds_read_b32 v76, v35
	ds_read_b32 v77, v39
	ds_read_b32 v78, v23
	ds_read_b32 v79, v34 offset:7056
	s_mov_b32 s0, 0x5040100
	s_waitcnt vmcnt(4) lgkmcnt(5)
	v_mul_f32_e32 v80, v74, v13
	v_mul_f32_e32 v13, v64, v13
	v_fmac_f32_e32 v80, v64, v12
	v_fma_f32 v64, v74, v12, -v13
	v_mul_f32_e32 v74, v52, v15
	v_mul_f32_e32 v12, v32, v15
	v_fmac_f32_e32 v74, v32, v14
	v_fma_f32 v32, v52, v14, -v12
	s_waitcnt vmcnt(3)
	v_mul_f32_e32 v52, v54, v17
	v_mul_f32_e32 v12, v46, v17
	v_fmac_f32_e32 v52, v46, v16
	v_fma_f32 v16, v54, v16, -v12
	v_mul_f32_e32 v17, v53, v19
	v_mul_f32_e32 v12, v33, v19
	v_fmac_f32_e32 v17, v33, v18
	v_fma_f32 v18, v53, v18, -v12
	ds_read2_b32 v[12:13], v20 offset0:104 offset1:230
	s_waitcnt vmcnt(2)
	v_mul_f32_e32 v19, v55, v25
	v_mul_f32_e32 v14, v47, v25
	v_fmac_f32_e32 v19, v47, v24
	v_fma_f32 v24, v55, v24, -v14
	ds_read2_b32 v[14:15], v7 offset0:112 offset1:238
	s_waitcnt lgkmcnt(1)
	v_mul_f32_e32 v25, v12, v27
	v_mul_f32_e32 v27, v48, v27
	v_fma_f32 v12, v12, v26, -v27
	s_waitcnt vmcnt(1)
	v_mul_f32_e32 v27, v49, v31
	v_fmac_f32_e32 v25, v48, v26
	v_mul_f32_e32 v26, v13, v31
	s_waitcnt lgkmcnt(0)
	v_mul_f32_e32 v31, v14, v29
	v_fma_f32 v13, v13, v30, -v27
	v_mul_f32_e32 v27, v50, v29
	v_fmac_f32_e32 v31, v50, v28
	v_fma_f32 v14, v14, v28, -v27
	s_waitcnt vmcnt(0)
	v_mul_f32_e32 v28, v51, v43
	v_mul_f32_e32 v27, v15, v43
	v_fma_f32 v15, v15, v42, -v28
	ds_read_b32 v28, v34
	v_fmac_f32_e32 v27, v51, v42
	v_add_f32_e32 v42, v80, v74
	v_add_f32_e32 v33, v59, v80
	v_fmac_f32_e32 v59, -0.5, v42
	v_sub_f32_e32 v42, v64, v32
	v_fmac_f32_e32 v26, v49, v30
	v_mul_f32_e32 v29, v79, v45
	v_mul_f32_e32 v30, v65, v45
	v_fmamk_f32 v43, v42, 0xbf5db3d7, v59
	v_fmac_f32_e32 v59, 0x3f5db3d7, v42
	s_waitcnt lgkmcnt(0)
	v_add_f32_e32 v42, v28, v64
	v_fmac_f32_e32 v29, v65, v44
	v_fma_f32 v30, v79, v44, -v30
	v_add_f32_e32 v44, v42, v32
	v_add_f32_e32 v32, v64, v32
	v_fmac_f32_e32 v28, -0.5, v32
	v_sub_f32_e32 v32, v80, v74
	v_add_f32_e32 v42, v52, v17
	v_fmamk_f32 v45, v32, 0x3f5db3d7, v28
	v_fmac_f32_e32 v28, 0xbf5db3d7, v32
	v_add_f32_e32 v32, v63, v52
	v_fmac_f32_e32 v63, -0.5, v42
	v_sub_f32_e32 v42, v16, v18
	v_fmamk_f32 v46, v42, 0xbf5db3d7, v63
	v_fmac_f32_e32 v63, 0x3f5db3d7, v42
	v_add_f32_e32 v42, v75, v16
	v_add_f32_e32 v16, v16, v18
	;; [unrolled: 1-line block ×3, first 2 shown]
	v_fmac_f32_e32 v75, -0.5, v16
	v_sub_f32_e32 v16, v52, v17
	v_add_f32_e32 v18, v19, v25
	v_add_f32_e32 v32, v32, v17
	v_fmamk_f32 v17, v16, 0x3f5db3d7, v75
	v_fmac_f32_e32 v75, 0xbf5db3d7, v16
	v_add_f32_e32 v16, v60, v19
	v_fmac_f32_e32 v60, -0.5, v18
	v_sub_f32_e32 v18, v24, v12
	v_fmamk_f32 v42, v18, 0xbf5db3d7, v60
	v_fmac_f32_e32 v60, 0x3f5db3d7, v18
	v_add_f32_e32 v18, v76, v24
	v_add_f32_e32 v18, v18, v12
	;; [unrolled: 1-line block ×3, first 2 shown]
	v_fmac_f32_e32 v76, -0.5, v12
	v_sub_f32_e32 v12, v19, v25
	v_add_f32_e32 v24, v31, v26
	v_fmamk_f32 v19, v12, 0x3f5db3d7, v76
	v_fmac_f32_e32 v76, 0xbf5db3d7, v12
	v_add_f32_e32 v12, v61, v31
	v_fmac_f32_e32 v61, -0.5, v24
	v_sub_f32_e32 v24, v14, v13
	v_add_f32_e32 v16, v16, v25
	v_fmamk_f32 v25, v24, 0xbf5db3d7, v61
	v_fmac_f32_e32 v61, 0x3f5db3d7, v24
	v_add_f32_e32 v24, v77, v14
	v_add_f32_e32 v24, v24, v13
	;; [unrolled: 1-line block ×4, first 2 shown]
	v_fmac_f32_e32 v77, -0.5, v13
	v_sub_f32_e32 v13, v31, v26
	v_add_f32_e32 v26, v27, v29
	v_fmamk_f32 v14, v13, 0x3f5db3d7, v77
	v_fmac_f32_e32 v77, 0xbf5db3d7, v13
	v_add_f32_e32 v13, v62, v27
	v_fmac_f32_e32 v62, -0.5, v26
	v_sub_f32_e32 v26, v15, v30
	v_fmamk_f32 v31, v26, 0xbf5db3d7, v62
	v_fmac_f32_e32 v62, 0x3f5db3d7, v26
	v_add_f32_e32 v26, v78, v15
	v_add_f32_e32 v15, v15, v30
	;; [unrolled: 1-line block ×3, first 2 shown]
	v_fmac_f32_e32 v78, -0.5, v15
	v_sub_f32_e32 v15, v27, v29
	v_mov_b32_e32 v74, 2
	v_add_f32_e32 v13, v13, v29
	v_fmamk_f32 v27, v15, 0x3f5db3d7, v78
	v_fmac_f32_e32 v78, 0xbf5db3d7, v15
	v_mul_u32_u24_e32 v15, 0x48, v56
	v_lshlrev_b32_sdwa v29, v74, v57 dst_sel:DWORD dst_unused:UNUSED_PAD src0_sel:DWORD src1_sel:BYTE_0
	v_add_f32_e32 v26, v26, v30
	v_add3_u32 v15, 0, v15, v29
	v_mul_u32_u24_e32 v29, 0x48, v66
	v_lshlrev_b32_sdwa v30, v74, v67 dst_sel:DWORD dst_unused:UNUSED_PAD src0_sel:DWORD src1_sel:BYTE_0
	v_add3_u32 v29, 0, v29, v30
	s_barrier
	ds_write2_b32 v15, v33, v43 offset1:6
	ds_write_b32 v15, v59 offset:48
	ds_write2_b32 v29, v32, v46 offset1:6
	ds_write_b32 v29, v63 offset:48
	v_mul_u32_u24_e32 v30, 0x48, v68
	v_lshlrev_b32_e32 v32, 2, v69
	v_add3_u32 v30, 0, v30, v32
	ds_write2_b32 v30, v16, v42 offset1:6
	ds_write_b32 v30, v60 offset:48
	v_perm_b32 v16, v72, v70, s0
	v_pk_mul_lo_u16 v16, v16, s1 op_sel_hi:[1,0]
	v_lshlrev_b32_e32 v33, 2, v71
	v_and_b32_e32 v32, 0xfff8, v16
	v_add3_u32 v43, 0, v32, v33
	ds_write2_b32 v43, v12, v25 offset1:6
	ds_write_b32 v43, v61 offset:48
	v_lshrrev_b32_e32 v12, 16, v16
	v_lshlrev_b32_e32 v16, 2, v73
	v_add3_u32 v12, 0, v12, v16
	v_mov_b32_e32 v16, 57
	s_mov_b32 s1, 0xe38f
	ds_write2_b32 v12, v13, v31 offset1:6
	ds_write_b32 v12, v62 offset:48
	s_waitcnt lgkmcnt(0)
	s_barrier
	ds_read_b32 v70, v34
	ds_read2_b32 v[32:33], v5 offset0:108 offset1:234
	ds_read2_b32 v[48:49], v21 offset0:116 offset1:242
	;; [unrolled: 1-line block ×4, first 2 shown]
	ds_read_b32 v71, v35
	ds_read_b32 v72, v39
	;; [unrolled: 1-line block ×5, first 2 shown]
	ds_read_b32 v79, v34 offset:7056
	s_waitcnt lgkmcnt(0)
	s_barrier
	ds_write2_b32 v15, v44, v45 offset1:6
	ds_write_b32 v15, v28 offset:48
	ds_write2_b32 v29, v47, v17 offset1:6
	ds_write_b32 v29, v75 offset:48
	;; [unrolled: 2-line block ×5, first 2 shown]
	v_mul_lo_u16_sdwa v12, v36, v16 dst_sel:DWORD dst_unused:UNUSED_PAD src0_sel:BYTE_0 src1_sel:DWORD
	v_mul_u32_u24_sdwa v24, v40, s1 dst_sel:DWORD dst_unused:UNUSED_PAD src0_sel:WORD_0 src1_sel:DWORD
	v_lshrrev_b16_e32 v75, 10, v12
	v_lshrrev_b32_e32 v80, 20, v24
	v_mul_lo_u16_e32 v12, 18, v75
	v_mul_lo_u16_sdwa v16, v41, v16 dst_sel:DWORD dst_unused:UNUSED_PAD src0_sel:BYTE_0 src1_sel:DWORD
	v_mul_lo_u16_e32 v24, 18, v80
	v_sub_u16_e32 v76, v36, v12
	v_lshrrev_b16_e32 v77, 10, v16
	v_sub_u16_e32 v81, v40, v24
	v_lshlrev_b32_sdwa v12, v58, v76 dst_sel:DWORD dst_unused:UNUSED_PAD src0_sel:DWORD src1_sel:BYTE_0
	v_mul_lo_u16_e32 v16, 18, v77
	v_lshlrev_b32_e32 v24, 4, v81
	s_waitcnt lgkmcnt(0)
	s_barrier
	global_load_dwordx4 v[12:15], v12, s[4:5] offset:128
	v_sub_u16_e32 v78, v41, v16
	global_load_dwordx4 v[44:47], v24, s[4:5] offset:128
	v_mul_u32_u24_sdwa v24, v10, s1 dst_sel:DWORD dst_unused:UNUSED_PAD src0_sel:WORD_0 src1_sel:DWORD
	v_lshlrev_b32_sdwa v16, v58, v78 dst_sel:DWORD dst_unused:UNUSED_PAD src0_sel:DWORD src1_sel:BYTE_0
	v_lshrrev_b32_e32 v82, 20, v24
	global_load_dwordx4 v[16:19], v16, s[4:5] offset:128
	v_mul_lo_u16_e32 v24, 18, v82
	v_sub_u16_e32 v83, v10, v24
	v_lshlrev_b32_e32 v10, 4, v83
	global_load_dwordx4 v[60:63], v10, s[4:5] offset:128
	v_mul_u32_u24_sdwa v10, v11, s1 dst_sel:DWORD dst_unused:UNUSED_PAD src0_sel:WORD_0 src1_sel:DWORD
	v_lshrrev_b32_e32 v84, 20, v10
	v_mul_lo_u16_e32 v10, 18, v84
	v_sub_u16_e32 v85, v11, v10
	v_lshlrev_b32_e32 v10, 4, v85
	global_load_dwordx4 v[64:67], v10, s[4:5] offset:128
	ds_read2_b32 v[10:11], v5 offset0:108 offset1:234
	ds_read2_b32 v[50:51], v21 offset0:116 offset1:242
	ds_read_b32 v21, v22
	ds_read_b32 v25, v3
	;; [unrolled: 1-line block ×5, first 2 shown]
	ds_read_b32 v86, v34 offset:7056
	s_movk_i32 s1, 0xd8
	s_waitcnt vmcnt(4) lgkmcnt(5)
	v_mul_f32_e32 v26, v21, v13
	v_mul_f32_e32 v13, v31, v13
	v_fmac_f32_e32 v26, v31, v12
	v_fma_f32 v31, v21, v12, -v13
	v_mul_f32_e32 v12, v32, v15
	v_mul_f32_e32 v29, v10, v15
	v_fma_f32 v54, v10, v14, -v12
	s_waitcnt vmcnt(2)
	v_mul_f32_e32 v10, v33, v19
	v_fma_f32 v43, v11, v18, -v10
	v_mul_f32_e32 v10, v48, v17
	v_mul_f32_e32 v27, v11, v19
	v_fma_f32 v53, v50, v16, -v10
	ds_read2_b32 v[10:11], v20 offset0:104 offset1:230
	v_mul_f32_e32 v12, v49, v45
	v_mul_f32_e32 v28, v51, v45
	v_fma_f32 v51, v51, v44, -v12
	ds_read2_b32 v[12:13], v7 offset0:112 offset1:238
	v_mul_f32_e32 v7, v56, v47
	v_fmac_f32_e32 v29, v32, v14
	s_waitcnt lgkmcnt(1)
	v_mul_f32_e32 v32, v10, v47
	v_fma_f32 v58, v10, v46, -v7
	s_waitcnt vmcnt(1)
	v_mul_f32_e32 v10, v57, v63
	v_mul_f32_e32 v23, v50, v17
	v_fma_f32 v59, v11, v62, -v10
	s_waitcnt vmcnt(0)
	v_mul_f32_e32 v10, v69, v65
	v_fmac_f32_e32 v23, v48, v16
	v_fmac_f32_e32 v27, v33, v18
	;; [unrolled: 1-line block ×3, first 2 shown]
	s_waitcnt lgkmcnt(0)
	v_mul_f32_e32 v33, v12, v61
	v_mul_f32_e32 v52, v11, v63
	;; [unrolled: 1-line block ×3, first 2 shown]
	v_fma_f32 v56, v13, v64, -v10
	v_mul_f32_e32 v10, v79, v67
	v_add_f32_e32 v11, v26, v29
	v_fmac_f32_e32 v28, v49, v44
	v_fmac_f32_e32 v33, v68, v60
	;; [unrolled: 1-line block ×3, first 2 shown]
	v_fma_f32 v57, v12, v60, -v14
	v_mul_f32_e32 v30, v13, v65
	v_fma_f32 v60, v86, v66, -v10
	v_add_f32_e32 v10, v70, v26
	v_fmac_f32_e32 v70, -0.5, v11
	v_sub_f32_e32 v11, v31, v54
	v_add_f32_e32 v13, v23, v27
	v_mul_f32_e32 v55, v86, v67
	v_fmamk_f32 v12, v11, 0xbf5db3d7, v70
	v_fmac_f32_e32 v70, 0x3f5db3d7, v11
	v_add_f32_e32 v11, v73, v23
	v_fmac_f32_e32 v73, -0.5, v13
	v_sub_f32_e32 v13, v53, v43
	v_add_f32_e32 v15, v28, v32
	v_fmac_f32_e32 v30, v69, v64
	v_fmac_f32_e32 v55, v79, v66
	v_fmamk_f32 v14, v13, 0xbf5db3d7, v73
	v_fmac_f32_e32 v73, 0x3f5db3d7, v13
	v_add_f32_e32 v13, v71, v28
	v_fmac_f32_e32 v71, -0.5, v15
	v_sub_f32_e32 v15, v51, v58
	v_add_f32_e32 v17, v33, v52
	v_fmamk_f32 v16, v15, 0xbf5db3d7, v71
	v_fmac_f32_e32 v71, 0x3f5db3d7, v15
	v_add_f32_e32 v15, v72, v33
	v_fmac_f32_e32 v72, -0.5, v17
	v_sub_f32_e32 v17, v57, v59
	v_add_f32_e32 v19, v30, v55
	v_fmamk_f32 v18, v17, 0xbf5db3d7, v72
	v_fmac_f32_e32 v72, 0x3f5db3d7, v17
	v_add_f32_e32 v17, v42, v30
	v_fmac_f32_e32 v42, -0.5, v19
	v_sub_f32_e32 v19, v56, v60
	v_fmamk_f32 v20, v19, 0xbf5db3d7, v42
	v_fmac_f32_e32 v42, 0x3f5db3d7, v19
	v_mul_u32_u24_e32 v19, 0xd8, v75
	v_lshlrev_b32_sdwa v21, v74, v76 dst_sel:DWORD dst_unused:UNUSED_PAD src0_sel:DWORD src1_sel:BYTE_0
	v_add_f32_e32 v10, v10, v29
	v_add3_u32 v61, 0, v19, v21
	ds_read_b32 v7, v34
	s_waitcnt lgkmcnt(0)
	s_barrier
	ds_write2_b32 v61, v10, v12 offset1:18
	ds_write_b32 v61, v70 offset:144
	v_mul_u32_u24_e32 v10, 0xd8, v77
	v_lshlrev_b32_sdwa v12, v74, v78 dst_sel:DWORD dst_unused:UNUSED_PAD src0_sel:DWORD src1_sel:BYTE_0
	v_add3_u32 v62, 0, v10, v12
	v_perm_b32 v10, v82, v80, s0
	v_add_f32_e32 v11, v11, v27
	v_pk_mul_lo_u16 v10, v10, s1 op_sel_hi:[1,0]
	ds_write2_b32 v62, v11, v14 offset1:18
	ds_write_b32 v62, v73 offset:144
	v_and_b32_e32 v11, 0xfff8, v10
	v_lshlrev_b32_e32 v12, 2, v81
	v_add3_u32 v63, 0, v11, v12
	v_lshrrev_b32_e32 v10, 16, v10
	v_lshlrev_b32_e32 v11, 2, v83
	v_add3_u32 v64, 0, v10, v11
	v_mul_u32_u24_e32 v10, 0xd8, v84
	v_lshlrev_b32_e32 v11, 2, v85
	v_add_f32_e32 v13, v13, v32
	v_add_f32_e32 v15, v15, v52
	;; [unrolled: 1-line block ×3, first 2 shown]
	v_add3_u32 v65, 0, v10, v11
	v_add_u32_e32 v66, 0x400, v34
	v_add_u32_e32 v67, 0x800, v34
	v_add_u32_e32 v68, 0xc00, v34
	v_add_u32_e32 v69, 0x1000, v34
	v_add_u32_e32 v70, 0x1400, v34
	ds_write2_b32 v63, v13, v16 offset1:18
	ds_write_b32 v63, v71 offset:144
	ds_write2_b32 v64, v15, v18 offset1:18
	ds_write_b32 v64, v72 offset:144
	ds_write2_b32 v65, v17, v20 offset1:18
	ds_write_b32 v65, v42 offset:144
	s_waitcnt lgkmcnt(0)
	s_barrier
	ds_read2_b32 v[20:21], v66 offset0:14 offset1:140
	ds_read2_b32 v[18:19], v67 offset0:28 offset1:154
	;; [unrolled: 1-line block ×5, first 2 shown]
	v_add_u32_e32 v71, 0x1800, v34
	ds_read_b32 v45, v34
	ds_read_b32 v44, v3
	ds_read2_b32 v[16:17], v71 offset0:84 offset1:210
	v_cmp_gt_u32_e64 s[0:1], 18, v36
                                        ; implicit-def: $vgpr49
                                        ; implicit-def: $vgpr48
                                        ; implicit-def: $vgpr46
                                        ; implicit-def: $vgpr47
                                        ; implicit-def: $vgpr50
	s_and_saveexec_b64 s[2:3], s[0:1]
	s_cbranch_execz .LBB0_21
; %bb.20:
	ds_read_b32 v8, v34 offset:2088
	ds_read_b32 v49, v34 offset:3168
	;; [unrolled: 1-line block ×5, first 2 shown]
	ds_read_b32 v42, v35
	ds_read_b32 v46, v34 offset:7488
.LBB0_21:
	s_or_b64 exec, exec, s[2:3]
	v_add_f32_e32 v72, v7, v31
	v_add_f32_e32 v31, v31, v54
	v_fmac_f32_e32 v7, -0.5, v31
	v_sub_f32_e32 v26, v26, v29
	v_add_f32_e32 v31, v53, v43
	v_fmamk_f32 v29, v26, 0x3f5db3d7, v7
	v_fmac_f32_e32 v7, 0xbf5db3d7, v26
	v_add_f32_e32 v26, v25, v53
	v_fmac_f32_e32 v25, -0.5, v31
	v_sub_f32_e32 v23, v23, v27
	v_add_f32_e32 v31, v51, v58
	v_fmamk_f32 v27, v23, 0x3f5db3d7, v25
	v_fmac_f32_e32 v25, 0xbf5db3d7, v23
	v_add_f32_e32 v23, v24, v51
	v_fmac_f32_e32 v24, -0.5, v31
	v_sub_f32_e32 v28, v28, v32
	v_add_f32_e32 v32, v57, v59
	v_add_f32_e32 v26, v26, v43
	v_fmamk_f32 v31, v28, 0x3f5db3d7, v24
	v_fmac_f32_e32 v24, 0xbf5db3d7, v28
	v_add_f32_e32 v28, v22, v57
	v_fmac_f32_e32 v22, -0.5, v32
	v_sub_f32_e32 v32, v33, v52
	v_add_f32_e32 v43, v56, v60
	v_fmamk_f32 v33, v32, 0x3f5db3d7, v22
	v_fmac_f32_e32 v22, 0xbf5db3d7, v32
	v_add_f32_e32 v32, v5, v56
	v_fmac_f32_e32 v5, -0.5, v43
	v_sub_f32_e32 v30, v30, v55
	v_add_f32_e32 v72, v72, v54
	v_add_f32_e32 v23, v23, v58
	;; [unrolled: 1-line block ×4, first 2 shown]
	v_fmamk_f32 v43, v30, 0x3f5db3d7, v5
	v_fmac_f32_e32 v5, 0xbf5db3d7, v30
	s_waitcnt lgkmcnt(0)
	s_barrier
	ds_write2_b32 v61, v72, v29 offset1:18
	ds_write_b32 v61, v7 offset:144
	ds_write2_b32 v62, v26, v27 offset1:18
	ds_write_b32 v62, v25 offset:144
	;; [unrolled: 2-line block ×5, first 2 shown]
	s_waitcnt lgkmcnt(0)
	s_barrier
	ds_read2_b32 v[32:33], v66 offset0:14 offset1:140
	ds_read2_b32 v[30:31], v67 offset0:28 offset1:154
	ds_read2_b32 v[28:29], v68 offset0:42 offset1:168
	ds_read2_b32 v[26:27], v69 offset0:56 offset1:182
	ds_read2_b32 v[24:25], v70 offset0:70 offset1:196
	ds_read2_b32 v[22:23], v71 offset0:84 offset1:210
	ds_read_b32 v43, v34
	ds_read_b32 v7, v3
                                        ; implicit-def: $vgpr58
                                        ; implicit-def: $vgpr56
                                        ; implicit-def: $vgpr51
                                        ; implicit-def: $vgpr52
                                        ; implicit-def: $vgpr60
	s_and_saveexec_b64 s[2:3], s[0:1]
	s_cbranch_execz .LBB0_23
; %bb.22:
	ds_read_b32 v9, v34 offset:2088
	ds_read_b32 v58, v34 offset:3168
	;; [unrolled: 1-line block ×5, first 2 shown]
	ds_read_b32 v5, v35
	ds_read_b32 v51, v34 offset:7488
.LBB0_23:
	s_or_b64 exec, exec, s[2:3]
	v_mov_b32_e32 v53, 19
	v_mul_lo_u16_sdwa v54, v36, v53 dst_sel:DWORD dst_unused:UNUSED_PAD src0_sel:BYTE_0 src1_sel:DWORD
	v_mul_lo_u16_sdwa v53, v41, v53 dst_sel:DWORD dst_unused:UNUSED_PAD src0_sel:BYTE_0 src1_sel:DWORD
	v_lshrrev_b16_e32 v98, 10, v54
	v_lshrrev_b16_e32 v100, 10, v53
	v_mul_lo_u16_e32 v54, 54, v98
	v_mul_lo_u16_e32 v53, 54, v100
	v_sub_u16_e32 v99, v36, v54
	v_mov_b32_e32 v54, 6
	v_sub_u16_e32 v101, v41, v53
	v_lshrrev_b16_e32 v53, 1, v40
	v_mul_u32_u24_sdwa v55, v99, v54 dst_sel:DWORD dst_unused:UNUSED_PAD src0_sel:BYTE_0 src1_sel:DWORD
	v_mul_u32_u24_sdwa v41, v101, v54 dst_sel:DWORD dst_unused:UNUSED_PAD src0_sel:BYTE_0 src1_sel:DWORD
	v_mul_u32_u24_e32 v53, 0x97b5, v53
	v_lshlrev_b32_e32 v55, 3, v55
	v_lshlrev_b32_e32 v41, 3, v41
	v_lshrrev_b32_e32 v53, 20, v53
	global_load_dwordx4 v[62:65], v55, s[4:5] offset:416
	global_load_dwordx4 v[66:69], v41, s[4:5] offset:416
	;; [unrolled: 1-line block ×6, first 2 shown]
	v_mul_lo_u16_e32 v41, 54, v53
	v_sub_u16_e32 v102, v40, v41
	v_mul_u32_u24_e32 v40, 6, v102
	v_lshlrev_b32_e32 v40, 3, v40
	global_load_dwordx4 v[86:89], v40, s[4:5] offset:416
	global_load_dwordx4 v[90:93], v40, s[4:5] offset:432
	;; [unrolled: 1-line block ×3, first 2 shown]
	s_mov_b32 s6, 0xbf5ff5aa
	s_mov_b32 s7, 0x3f3bfb3b
	;; [unrolled: 1-line block ×4, first 2 shown]
	s_waitcnt lgkmcnt(0)
	s_barrier
	s_waitcnt vmcnt(7)
	v_mul_f32_e32 v41, v31, v69
	v_mul_f32_e32 v40, v33, v67
	;; [unrolled: 1-line block ×8, first 2 shown]
	v_fmac_f32_e32 v41, v19, v68
	s_waitcnt vmcnt(2)
	v_mul_f32_e32 v19, v9, v87
	v_fmac_f32_e32 v53, v20, v62
	v_fma_f32 v61, v32, v62, -v55
	v_fma_f32 v62, v30, v64, -v63
	v_fmac_f32_e32 v40, v21, v66
	v_mul_f32_e32 v63, v24, v79
	v_fma_f32 v21, v33, v66, -v65
	v_mul_f32_e32 v65, v11, v83
	v_fma_f32 v32, v31, v68, -v67
	v_mul_f32_e32 v67, v8, v87
	v_fmac_f32_e32 v19, v8, v86
	s_waitcnt vmcnt(1)
	v_mul_f32_e32 v8, v48, v93
	v_mul_f32_e32 v57, v28, v71
	;; [unrolled: 1-line block ×5, first 2 shown]
	v_fmac_f32_e32 v54, v18, v64
	v_mul_f32_e32 v18, v29, v75
	v_mul_f32_e32 v73, v13, v75
	;; [unrolled: 1-line block ×8, first 2 shown]
	v_fmac_f32_e32 v63, v10, v78
	v_fma_f32 v10, v25, v82, -v65
	v_fma_f32 v25, v56, v92, -v8
	s_waitcnt vmcnt(0)
	v_mul_f32_e32 v8, v47, v95
	v_fmac_f32_e32 v57, v12, v70
	v_fmac_f32_e32 v18, v13, v74
	v_fma_f32 v12, v29, v74, -v73
	v_fma_f32 v13, v27, v76, -v75
	v_fmac_f32_e32 v64, v16, v80
	v_fma_f32 v16, v22, v80, -v33
	v_mul_f32_e32 v27, v52, v95
	v_fma_f32 v29, v52, v94, -v8
	v_mul_f32_e32 v33, v51, v97
	v_mul_f32_e32 v8, v46, v97
	;; [unrolled: 1-line block ×3, first 2 shown]
	v_fma_f32 v28, v28, v70, -v69
	v_fmac_f32_e32 v59, v14, v72
	v_fma_f32 v14, v26, v72, -v71
	v_mul_f32_e32 v26, v60, v91
	v_fmac_f32_e32 v20, v15, v76
	v_fma_f32 v15, v24, v78, -v77
	v_mul_f32_e32 v24, v56, v93
	v_fmac_f32_e32 v27, v47, v94
	v_fmac_f32_e32 v33, v46, v96
	v_fma_f32 v46, v51, v96, -v8
	v_add_f32_e32 v8, v53, v64
	v_add_f32_e32 v47, v54, v63
	v_mul_f32_e32 v55, v23, v85
	v_mul_f32_e32 v68, v49, v89
	;; [unrolled: 1-line block ×3, first 2 shown]
	v_fmac_f32_e32 v31, v49, v88
	v_fmac_f32_e32 v26, v50, v90
	;; [unrolled: 1-line block ×3, first 2 shown]
	v_sub_f32_e32 v48, v62, v15
	v_add_f32_e32 v49, v57, v59
	v_sub_f32_e32 v50, v14, v28
	v_add_f32_e32 v51, v47, v8
	v_mul_f32_e32 v66, v17, v85
	v_fmac_f32_e32 v55, v17, v84
	v_fma_f32 v22, v58, v88, -v68
	v_sub_f32_e32 v17, v61, v16
	v_sub_f32_e32 v52, v47, v8
	;; [unrolled: 1-line block ×4, first 2 shown]
	v_add_f32_e32 v56, v50, v48
	v_sub_f32_e32 v58, v50, v48
	v_add_f32_e32 v49, v49, v51
	v_sub_f32_e32 v50, v17, v50
	v_sub_f32_e32 v48, v48, v17
	v_add_f32_e32 v17, v56, v17
	v_add_f32_e32 v51, v45, v49
	v_mul_f32_e32 v8, 0x3f4a47b2, v8
	v_mul_f32_e32 v45, 0x3d64c772, v47
	;; [unrolled: 1-line block ×4, first 2 shown]
	v_fmamk_f32 v49, v49, 0xbf955555, v51
	v_fma_f32 v45, v52, s7, -v45
	v_fma_f32 v52, v52, s10, -v8
	v_fmac_f32_e32 v8, 0x3d64c772, v47
	v_fma_f32 v47, v48, s6, -v56
	v_fmac_f32_e32 v56, 0xbeae86e6, v50
	v_fmac_f32_e32 v30, v11, v82
	v_fma_f32 v48, v50, s11, -v58
	v_add_f32_e32 v8, v8, v49
	v_add_f32_e32 v45, v45, v49
	v_fmac_f32_e32 v56, 0xbee1c552, v17
	v_fmac_f32_e32 v47, 0xbee1c552, v17
	v_add_f32_e32 v49, v52, v49
	v_fmac_f32_e32 v48, 0xbee1c552, v17
	v_add_f32_e32 v17, v56, v8
	v_sub_f32_e32 v52, v45, v47
	v_add_f32_e32 v47, v47, v45
	v_sub_f32_e32 v8, v8, v56
	v_add_f32_e32 v45, v40, v55
	v_add_f32_e32 v56, v41, v30
	v_fma_f32 v11, v23, v84, -v66
	v_fma_f32 v23, v60, v90, -v69
	v_sub_f32_e32 v58, v32, v10
	v_add_f32_e32 v60, v18, v20
	v_sub_f32_e32 v65, v13, v12
	v_add_f32_e32 v66, v56, v45
	v_fma_f32 v9, v9, v86, -v67
	v_add_f32_e32 v50, v48, v49
	v_sub_f32_e32 v49, v49, v48
	v_sub_f32_e32 v48, v21, v11
	;; [unrolled: 1-line block ×5, first 2 shown]
	v_add_f32_e32 v68, v65, v58
	v_sub_f32_e32 v69, v65, v58
	v_add_f32_e32 v60, v60, v66
	v_sub_f32_e32 v65, v48, v65
	v_sub_f32_e32 v58, v58, v48
	v_add_f32_e32 v48, v68, v48
	v_add_f32_e32 v44, v44, v60
	v_mul_f32_e32 v45, 0x3f4a47b2, v45
	v_mul_f32_e32 v66, 0x3d64c772, v56
	;; [unrolled: 1-line block ×4, first 2 shown]
	v_fmamk_f32 v60, v60, 0xbf955555, v44
	v_fma_f32 v66, v67, s7, -v66
	v_fma_f32 v67, v67, s10, -v45
	v_fmac_f32_e32 v45, 0x3d64c772, v56
	v_fma_f32 v56, v58, s6, -v68
	v_fmac_f32_e32 v68, 0xbeae86e6, v65
	v_fma_f32 v58, v65, s11, -v69
	v_add_f32_e32 v65, v66, v60
	v_fmac_f32_e32 v56, 0xbee1c552, v48
	v_add_f32_e32 v45, v45, v60
	v_add_f32_e32 v60, v67, v60
	v_fmac_f32_e32 v68, 0xbee1c552, v48
	v_fmac_f32_e32 v58, 0xbee1c552, v48
	v_sub_f32_e32 v69, v65, v56
	v_add_f32_e32 v56, v56, v65
	v_mov_b32_e32 v65, 2
	v_add_f32_e32 v66, v68, v45
	v_add_f32_e32 v67, v58, v60
	v_sub_f32_e32 v58, v60, v58
	v_sub_f32_e32 v60, v45, v68
	v_mul_u32_u24_e32 v45, 0x5e8, v98
	v_lshlrev_b32_sdwa v48, v65, v99 dst_sel:DWORD dst_unused:UNUSED_PAD src0_sel:DWORD src1_sel:BYTE_0
	v_add3_u32 v45, 0, v45, v48
	v_add_u32_e32 v48, 0x200, v45
	ds_write2_b32 v45, v51, v17 offset1:54
	ds_write2_b32 v45, v50, v52 offset0:108 offset1:162
	ds_write2_b32 v48, v47, v49 offset0:88 offset1:142
	ds_write_b32 v45, v8 offset:1296
	v_mul_u32_u24_e32 v8, 0x5e8, v100
	v_lshlrev_b32_sdwa v17, v65, v101 dst_sel:DWORD dst_unused:UNUSED_PAD src0_sel:DWORD src1_sel:BYTE_0
	v_add3_u32 v47, 0, v8, v17
	ds_write2_b32 v47, v44, v66 offset1:54
	ds_write2_b32 v47, v67, v69 offset0:108 offset1:162
	v_add_u32_e32 v49, 0x200, v47
	v_lshl_add_u32 v44, v102, 2, 0
	ds_write2_b32 v49, v56, v58 offset0:88 offset1:142
	ds_write_b32 v47, v60 offset:1296
	s_and_saveexec_b64 s[2:3], s[0:1]
	s_cbranch_execz .LBB0_25
; %bb.24:
	v_add_f32_e32 v8, v19, v33
	v_add_f32_e32 v51, v31, v27
	;; [unrolled: 1-line block ×4, first 2 shown]
	v_sub_f32_e32 v60, v25, v23
	v_sub_f32_e32 v66, v22, v29
	;; [unrolled: 1-line block ×4, first 2 shown]
	v_add_f32_e32 v17, v17, v58
	v_sub_f32_e32 v58, v9, v46
	v_sub_f32_e32 v67, v60, v66
	v_mul_f32_e32 v50, 0x3f4a47b2, v50
	v_mul_f32_e32 v56, 0x3d64c772, v52
	v_add_f32_e32 v42, v42, v17
	v_sub_f32_e32 v65, v58, v60
	v_mul_f32_e32 v67, 0x3f08b237, v67
	v_add_f32_e32 v60, v60, v66
	v_sub_f32_e32 v8, v51, v8
	v_sub_f32_e32 v51, v66, v58
	v_fmamk_f32 v52, v52, 0x3d64c772, v50
	v_fmamk_f32 v17, v17, 0xbf955555, v42
	;; [unrolled: 1-line block ×3, first 2 shown]
	v_add_f32_e32 v60, v60, v58
	v_fma_f32 v50, v8, s10, -v50
	v_mul_f32_e32 v58, 0xbf5ff5aa, v51
	v_fma_f32 v51, v51, s6, -v67
	v_fma_f32 v8, v8, s7, -v56
	v_add_f32_e32 v52, v52, v17
	v_fmac_f32_e32 v68, 0xbee1c552, v60
	v_fma_f32 v58, v65, s11, -v58
	v_fmac_f32_e32 v51, 0xbee1c552, v60
	v_add_f32_e32 v8, v8, v17
	v_sub_f32_e32 v69, v52, v68
	v_add_f32_e32 v50, v50, v17
	v_fmac_f32_e32 v58, 0xbee1c552, v60
	v_add_f32_e32 v17, v51, v8
	v_sub_f32_e32 v8, v8, v51
	v_add_f32_e32 v51, v68, v52
	v_add_u32_e32 v52, 0x1600, v44
	v_sub_f32_e32 v65, v50, v58
	v_add_f32_e32 v50, v58, v50
	ds_write2_b32 v52, v42, v51 offset0:104 offset1:158
	v_add_u32_e32 v42, 0x1800, v44
	ds_write2_b32 v42, v50, v8 offset0:84 offset1:138
	ds_write2_b32 v42, v17, v65 offset0:192 offset1:246
	ds_write_b32 v44, v69 offset:7344
.LBB0_25:
	s_or_b64 exec, exec, s[2:3]
	v_add_f32_e32 v8, v61, v16
	v_add_f32_e32 v15, v62, v15
	v_sub_f32_e32 v17, v54, v63
	v_add_f32_e32 v14, v28, v14
	v_sub_f32_e32 v28, v59, v57
	;; [unrolled: 2-line block ×3, first 2 shown]
	v_sub_f32_e32 v50, v15, v8
	v_sub_f32_e32 v8, v8, v14
	;; [unrolled: 1-line block ×3, first 2 shown]
	v_add_f32_e32 v51, v28, v17
	v_sub_f32_e32 v52, v28, v17
	v_add_f32_e32 v14, v14, v42
	v_sub_f32_e32 v28, v16, v28
	v_sub_f32_e32 v17, v17, v16
	v_add_f32_e32 v16, v51, v16
	v_add_f32_e32 v42, v43, v14
	v_mul_f32_e32 v8, 0x3f4a47b2, v8
	v_mul_f32_e32 v43, 0x3d64c772, v15
	;; [unrolled: 1-line block ×4, first 2 shown]
	v_fmamk_f32 v14, v14, 0xbf955555, v42
	v_fma_f32 v43, v50, s7, -v43
	v_fma_f32 v50, v50, s10, -v8
	v_fmac_f32_e32 v8, 0x3d64c772, v15
	v_fma_f32 v15, v17, s6, -v51
	v_fmac_f32_e32 v51, 0xbeae86e6, v28
	v_fma_f32 v17, v28, s11, -v52
	v_add_f32_e32 v8, v8, v14
	v_fmac_f32_e32 v51, 0xbee1c552, v16
	v_add_f32_e32 v28, v43, v14
	v_add_f32_e32 v14, v50, v14
	v_fmac_f32_e32 v15, 0xbee1c552, v16
	v_fmac_f32_e32 v17, 0xbee1c552, v16
	v_sub_f32_e32 v43, v8, v51
	v_add_f32_e32 v51, v51, v8
	v_add_f32_e32 v8, v21, v11
	;; [unrolled: 1-line block ×3, first 2 shown]
	v_sub_f32_e32 v50, v14, v17
	v_add_f32_e32 v52, v15, v28
	v_sub_f32_e32 v53, v28, v15
	v_add_f32_e32 v54, v17, v14
	;; [unrolled: 2-line block ×4, first 2 shown]
	v_sub_f32_e32 v11, v40, v55
	v_sub_f32_e32 v16, v10, v8
	;; [unrolled: 1-line block ×4, first 2 shown]
	v_add_f32_e32 v17, v13, v14
	v_sub_f32_e32 v18, v13, v14
	v_add_f32_e32 v12, v12, v15
	v_sub_f32_e32 v13, v11, v13
	v_sub_f32_e32 v14, v14, v11
	v_add_f32_e32 v11, v17, v11
	v_add_f32_e32 v7, v7, v12
	v_mul_f32_e32 v8, 0x3f4a47b2, v8
	v_mul_f32_e32 v15, 0x3d64c772, v10
	;; [unrolled: 1-line block ×3, first 2 shown]
	v_fmamk_f32 v12, v12, 0xbf955555, v7
	v_fma_f32 v15, v16, s7, -v15
	v_fma_f32 v16, v16, s10, -v8
	v_fmac_f32_e32 v8, 0x3d64c772, v10
	v_fma_f32 v10, v14, s6, -v17
	v_fmac_f32_e32 v17, 0xbeae86e6, v13
	v_add_f32_e32 v8, v8, v12
	v_fmac_f32_e32 v17, 0xbee1c552, v11
	v_mul_f32_e32 v18, 0xbf5ff5aa, v14
	v_sub_f32_e32 v40, v8, v17
	v_add_f32_e32 v58, v17, v8
	v_add_u32_e32 v8, 0x1000, v34
	v_fma_f32 v13, v13, s11, -v18
	v_add_f32_e32 v14, v15, v12
	v_fmac_f32_e32 v10, 0xbee1c552, v11
	s_waitcnt lgkmcnt(0)
	s_barrier
	ds_read2_b32 v[20:21], v8 offset0:110 offset1:236
	v_add_u32_e32 v8, 0x1400, v34
	v_fmac_f32_e32 v13, 0xbee1c552, v11
	v_add_f32_e32 v55, v10, v14
	v_sub_f32_e32 v56, v14, v10
	v_lshl_add_u32 v38, v38, 2, 0
	ds_read2_b32 v[10:11], v8 offset0:106 offset1:232
	ds_read_b32 v28, v34
	ds_read_b32 v30, v38
	;; [unrolled: 1-line block ×3, first 2 shown]
	v_add_u32_e32 v8, 0x600, v34
	v_add_f32_e32 v12, v16, v12
	ds_read2_b32 v[14:15], v8 offset0:120 offset1:246
	v_add_u32_e32 v8, 0xc00, v34
	v_sub_f32_e32 v41, v12, v13
	v_add_f32_e32 v57, v13, v12
	ds_read2_b32 v[12:13], v8 offset0:114 offset1:240
	v_add_u32_e32 v8, 0x1800, v34
	ds_read2_b32 v[16:17], v8 offset0:102 offset1:228
	ds_read_b32 v32, v39
	ds_read_b32 v8, v35
	s_waitcnt lgkmcnt(0)
	s_barrier
	ds_write2_b32 v45, v42, v43 offset1:54
	ds_write2_b32 v45, v50, v52 offset0:108 offset1:162
	ds_write2_b32 v48, v53, v54 offset0:88 offset1:142
	ds_write_b32 v45, v51 offset:1296
	ds_write2_b32 v47, v7, v40 offset1:54
	ds_write2_b32 v47, v41, v55 offset0:108 offset1:162
	ds_write2_b32 v49, v56, v57 offset0:88 offset1:142
	ds_write_b32 v47, v58 offset:1296
	s_and_saveexec_b64 s[2:3], s[0:1]
	s_cbranch_execz .LBB0_27
; %bb.26:
	v_add_f32_e32 v7, v9, v46
	v_sub_f32_e32 v9, v19, v33
	v_add_f32_e32 v19, v22, v29
	v_add_f32_e32 v23, v23, v25
	v_sub_f32_e32 v22, v31, v27
	v_sub_f32_e32 v24, v24, v26
	v_add_f32_e32 v25, v19, v7
	v_sub_f32_e32 v26, v19, v7
	v_sub_f32_e32 v19, v23, v19
	;; [unrolled: 1-line block ×3, first 2 shown]
	v_add_f32_e32 v27, v24, v22
	v_sub_f32_e32 v29, v24, v22
	v_add_f32_e32 v23, v23, v25
	v_mul_f32_e32 v25, 0x3d64c772, v19
	s_mov_b32 s1, 0x3f3bfb3b
	v_sub_f32_e32 v24, v9, v24
	v_sub_f32_e32 v22, v22, v9
	v_add_f32_e32 v9, v27, v9
	v_add_f32_e32 v5, v5, v23
	v_mul_f32_e32 v7, 0x3f4a47b2, v7
	v_mul_f32_e32 v27, 0x3f08b237, v29
	s_mov_b32 s0, 0xbf5ff5aa
	v_fma_f32 v25, v26, s1, -v25
	s_mov_b32 s1, 0xbf3bfb3b
	v_mul_f32_e32 v29, 0xbf5ff5aa, v22
	v_fmamk_f32 v23, v23, 0xbf955555, v5
	v_fma_f32 v26, v26, s1, -v7
	v_fmac_f32_e32 v7, 0x3d64c772, v19
	v_fmamk_f32 v19, v24, 0xbeae86e6, v27
	v_fma_f32 v22, v22, s0, -v27
	s_mov_b32 s0, 0x3eae86e6
	v_fma_f32 v24, v24, s0, -v29
	v_add_f32_e32 v7, v7, v23
	v_fmac_f32_e32 v19, 0xbee1c552, v9
	v_add_f32_e32 v25, v25, v23
	v_add_f32_e32 v23, v26, v23
	v_fmac_f32_e32 v22, 0xbee1c552, v9
	v_fmac_f32_e32 v24, 0xbee1c552, v9
	v_sub_f32_e32 v9, v7, v19
	v_add_f32_e32 v7, v19, v7
	v_add_u32_e32 v19, 0x1600, v44
	v_sub_f32_e32 v26, v23, v24
	v_add_f32_e32 v27, v22, v25
	ds_write2_b32 v19, v5, v9 offset0:104 offset1:158
	v_add_u32_e32 v5, 0x1800, v44
	v_sub_f32_e32 v22, v25, v22
	v_add_f32_e32 v23, v24, v23
	ds_write2_b32 v5, v26, v27 offset0:84 offset1:138
	ds_write2_b32 v5, v22, v23 offset0:192 offset1:246
	ds_write_b32 v44, v7 offset:7344
.LBB0_27:
	s_or_b64 exec, exec, s[2:3]
	s_waitcnt lgkmcnt(0)
	s_barrier
	s_and_saveexec_b64 s[0:1], vcc
	s_cbranch_execz .LBB0_29
; %bb.28:
	v_mov_b32_e32 v5, 0
	v_mov_b32_e32 v7, v5
	v_lshl_add_u64 v[6:7], v[6:7], 3, s[4:5]
	global_load_dwordx4 v[40:43], v[6:7], off offset:3008
	global_load_dwordx4 v[44:47], v[6:7], off offset:3024
	ds_read_b32 v52, v39
	ds_read_b32 v9, v35
	;; [unrolled: 1-line block ×5, first 2 shown]
	v_mad_u64_u32 v[54:55], s[0:1], s8, v36, 0
	v_add_u32_e32 v39, 0x17a, v36
	v_add_u32_e32 v49, 0x2f4, v36
	;; [unrolled: 1-line block ×8, first 2 shown]
	v_lshl_add_u64 v[34:35], v[4:5], 3, s[4:5]
	v_mov_b32_e32 v3, v5
	v_mov_b32_e32 v4, v55
	v_mad_u64_u32 v[62:63], s[2:3], s8, v39, 0
	v_mad_u64_u32 v[64:65], s[2:3], s8, v49, 0
	;; [unrolled: 1-line block ×3, first 2 shown]
	v_lshl_add_u64 v[70:71], v[2:3], 3, s[4:5]
	v_mad_u64_u32 v[2:3], s[2:3], s9, v36, v[4:5]
	v_mov_b32_e32 v4, v63
	v_mov_b32_e32 v48, v65
	;; [unrolled: 1-line block ×3, first 2 shown]
	ds_read2_b32 v[26:27], v6 offset0:120 offset1:246
	ds_read2_b32 v[22:23], v7 offset0:114 offset1:240
	ds_read2_b32 v[24:25], v24 offset0:102 offset1:228
	ds_read2_b32 v[6:7], v31 offset0:106 offset1:232
	ds_read2_b32 v[60:61], v33 offset0:110 offset1:236
	v_mov_b32_e32 v55, v2
	v_mad_u64_u32 v[74:75], s[2:3], s9, v39, v[4:5]
	v_mad_u64_u32 v[76:77], s[2:3], s9, v49, v[48:49]
	;; [unrolled: 1-line block ×3, first 2 shown]
	global_load_dwordx4 v[2:5], v[70:71], off offset:3024
	global_load_dwordx4 v[48:51], v[70:71], off offset:3008
	v_add_u32_e32 v53, 0x5e8, v36
	v_mad_u64_u32 v[68:69], s[2:3], s8, v53, 0
	v_mov_b32_e32 v72, v69
	v_mad_u64_u32 v[72:73], s[2:3], s9, v53, v[72:73]
	s_waitcnt lgkmcnt(1)
	v_mov_b32_e32 v70, v7
	v_mov_b32_e32 v56, v11
	;; [unrolled: 1-line block ×5, first 2 shown]
	s_mov_b32 s2, 0x3f737871
	s_mov_b32 s4, 0x3f167918
	s_movk_i32 s1, 0x5e8
	s_mov_b32 s0, 0x3e9e377a
	v_lshl_add_u64 v[54:55], v[54:55], 3, v[0:1]
	v_lshl_add_u64 v[62:63], v[62:63], 3, v[0:1]
	v_mov_b32_e32 v65, v76
	v_mov_b32_e32 v67, v78
	v_lshl_add_u64 v[64:65], v[64:65], 3, v[0:1]
	v_add_u32_e32 v7, 0x7e, v36
	v_lshl_add_u64 v[66:67], v[66:67], 3, v[0:1]
	v_lshl_add_u64 v[68:69], v[68:69], 3, v[0:1]
	s_waitcnt vmcnt(3)
	v_pk_mul_f32 v[52:53], v[52:53], v[40:41] op_sel_hi:[0,1]
	s_waitcnt vmcnt(2)
	v_pk_mul_f32 v[70:71], v[46:47], v[70:71] op_sel_hi:[1,0]
	v_pk_mul_f32 v[38:39], v[42:43], v[38:39] op_sel_hi:[1,0]
	s_waitcnt lgkmcnt(0)
	v_pk_mul_f32 v[72:73], v[44:45], v[60:61] op_sel_hi:[1,0]
	v_pk_fma_f32 v[74:75], v[32:33], v[40:41], v[52:53] op_sel:[0,0,1] op_sel_hi:[1,1,0]
	v_pk_fma_f32 v[32:33], v[32:33], v[40:41], v[52:53] op_sel:[0,0,1] op_sel_hi:[0,1,0] neg_lo:[1,0,0] neg_hi:[1,0,0]
	v_pk_fma_f32 v[40:41], v[56:57], v[46:47], v[70:71] op_sel:[0,0,1] op_sel_hi:[1,1,0]
	v_pk_fma_f32 v[46:47], v[58:59], v[46:47], v[70:71] op_sel:[0,0,1] op_sel_hi:[0,1,0] neg_lo:[1,0,0] neg_hi:[1,0,0]
	;; [unrolled: 2-line block ×4, first 2 shown]
	v_mov_b32_e32 v75, v33
	v_mov_b32_e32 v41, v47
	;; [unrolled: 1-line block ×4, first 2 shown]
	v_pk_add_f32 v[30:31], v[74:75], v[52:53] neg_lo:[0,1] neg_hi:[0,1]
	v_pk_add_f32 v[32:33], v[40:41], v[38:39] neg_lo:[0,1] neg_hi:[0,1]
	;; [unrolled: 1-line block ×3, first 2 shown]
	v_pk_add_f32 v[30:31], v[30:31], v[32:33]
	v_pk_add_f32 v[32:33], v[52:53], v[38:39]
	v_pk_add_f32 v[46:47], v[52:53], v[38:39] neg_lo:[0,1] neg_hi:[0,1]
	v_pk_fma_f32 v[32:33], v[32:33], 0.5, v[28:29] op_sel_hi:[1,0,1] neg_lo:[1,0,0] neg_hi:[1,0,0]
	v_pk_add_f32 v[58:59], v[28:29], v[74:75]
	v_pk_fma_f32 v[44:45], v[42:43], s[2:3], v[32:33] op_sel:[1,0,0] op_sel_hi:[0,0,1]
	v_pk_fma_f32 v[32:33], v[42:43], s[2:3], v[32:33] op_sel:[1,0,0] op_sel_hi:[0,0,1] neg_lo:[1,0,0] neg_hi:[1,0,0]
	v_pk_fma_f32 v[32:33], v[46:47], s[4:5], v[32:33] op_sel:[1,0,0] op_sel_hi:[0,0,1] neg_lo:[1,0,0] neg_hi:[1,0,0]
	v_pk_fma_f32 v[44:45], v[46:47], s[4:5], v[44:45] op_sel:[1,0,0] op_sel_hi:[0,0,1]
	v_pk_add_f32 v[58:59], v[58:59], v[52:53]
	v_mov_b32_e32 v56, v44
	v_mov_b32_e32 v57, v33
	v_pk_add_f32 v[58:59], v[58:59], v[38:39]
	v_mov_b32_e32 v33, v45
	v_pk_fma_f32 v[56:57], v[30:31], s[0:1], v[56:57] op_sel_hi:[1,0,1]
	v_pk_add_f32 v[58:59], v[40:41], v[58:59]
	v_pk_fma_f32 v[30:31], v[30:31], s[0:1], v[32:33] op_sel_hi:[1,0,1]
	global_store_dwordx2 v[54:55], v[58:59], off
	global_store_dwordx2 v[62:63], v[30:31], off
	v_pk_add_f32 v[30:31], v[74:75], v[40:41]
	v_pk_add_f32 v[32:33], v[38:39], v[40:41] neg_lo:[0,1] neg_hi:[0,1]
	v_pk_fma_f32 v[28:29], v[30:31], 0.5, v[28:29] op_sel_hi:[1,0,1] neg_lo:[1,0,0] neg_hi:[1,0,0]
	v_pk_add_f32 v[30:31], v[52:53], v[74:75] neg_lo:[0,1] neg_hi:[0,1]
	s_nop 0
	v_pk_add_f32 v[30:31], v[30:31], v[32:33]
	v_pk_fma_f32 v[32:33], v[46:47], s[2:3], v[28:29] op_sel:[1,0,0] op_sel_hi:[0,0,1] neg_lo:[1,0,0] neg_hi:[1,0,0]
	v_pk_fma_f32 v[28:29], v[46:47], s[2:3], v[28:29] op_sel:[1,0,0] op_sel_hi:[0,0,1]
	v_pk_fma_f32 v[28:29], v[42:43], s[4:5], v[28:29] op_sel:[1,0,0] op_sel_hi:[0,0,1] neg_lo:[1,0,0] neg_hi:[1,0,0]
	v_pk_fma_f32 v[32:33], v[42:43], s[4:5], v[32:33] op_sel:[1,0,0] op_sel_hi:[0,0,1]
	v_mov_b32_e32 v39, v29
	v_mov_b32_e32 v29, v33
	;; [unrolled: 1-line block ×3, first 2 shown]
	v_pk_fma_f32 v[28:29], v[30:31], s[0:1], v[28:29] op_sel_hi:[1,0,1]
	v_pk_fma_f32 v[38:39], v[30:31], s[0:1], v[38:39] op_sel_hi:[1,0,1]
	global_store_dwordx2 v[64:65], v[28:29], off
	global_store_dwordx2 v[66:67], v[38:39], off
	;; [unrolled: 1-line block ×3, first 2 shown]
	v_mad_u64_u32 v[28:29], s[6:7], s8, v7, 0
	v_mov_b32_e32 v20, v29
	v_mad_u64_u32 v[30:31], s[6:7], s9, v7, v[20:21]
	v_mov_b32_e32 v29, v30
	v_add_u32_e32 v7, 0x1f8, v36
	v_lshl_add_u64 v[32:33], v[28:29], 3, v[0:1]
	v_mad_u64_u32 v[28:29], s[6:7], s8, v7, 0
	v_mov_b32_e32 v20, v29
	v_mad_u64_u32 v[30:31], s[6:7], s9, v7, v[20:21]
	v_mov_b32_e32 v29, v30
	v_lshl_add_u64 v[38:39], v[28:29], 3, v[0:1]
	v_mad_u64_u32 v[28:29], s[6:7], s8, v37, 0
	v_mov_b32_e32 v20, v29
	v_mad_u64_u32 v[30:31], s[6:7], s9, v37, v[20:21]
	v_mov_b32_e32 v29, v30
	v_add_u32_e32 v7, 0x4ec, v36
	v_lshl_add_u64 v[40:41], v[28:29], 3, v[0:1]
	v_mad_u64_u32 v[28:29], s[6:7], s8, v7, 0
	v_mov_b32_e32 v20, v29
	v_mad_u64_u32 v[30:31], s[6:7], s9, v7, v[20:21]
	v_mov_b32_e32 v29, v30
	v_add_u32_e32 v7, 0x666, v36
	v_lshl_add_u64 v[42:43], v[28:29], 3, v[0:1]
	v_mad_u64_u32 v[28:29], s[6:7], s8, v7, 0
	v_mov_b32_e32 v20, v29
	v_mad_u64_u32 v[30:31], s[6:7], s9, v7, v[20:21]
	v_mov_b32_e32 v29, v30
	v_lshl_add_u64 v[44:45], v[28:29], 3, v[0:1]
	s_waitcnt vmcnt(5)
	v_pk_mul_f32 v[28:29], v[48:49], v[26:27] op_sel_hi:[1,0]
	v_add_u32_e32 v7, 0xfc, v36
	v_pk_fma_f32 v[46:47], v[14:15], v[48:49], v[28:29] op_sel:[0,0,1] op_sel_hi:[1,1,0]
	v_pk_fma_f32 v[28:29], v[14:15], v[48:49], v[28:29] op_sel:[0,0,1] op_sel_hi:[0,1,0] neg_lo:[1,0,0] neg_hi:[1,0,0]
	v_mov_b32_e32 v47, v29
	v_pk_mul_f32 v[28:29], v[4:5], v[24:25] op_sel_hi:[1,0]
	v_pk_add_f32 v[62:63], v[18:19], v[46:47]
	v_pk_fma_f32 v[48:49], v[16:17], v[4:5], v[28:29] op_sel:[0,0,1] op_sel_hi:[1,1,0]
	v_pk_fma_f32 v[4:5], v[16:17], v[4:5], v[28:29] op_sel:[0,0,1] op_sel_hi:[0,1,0] neg_lo:[1,0,0] neg_hi:[1,0,0]
	v_mov_b32_e32 v49, v5
	v_pk_mul_f32 v[4:5], v[50:51], v[22:23] op_sel_hi:[1,0]
	v_pk_add_f32 v[56:57], v[46:47], v[48:49] neg_lo:[0,1] neg_hi:[0,1]
	v_pk_fma_f32 v[52:53], v[12:13], v[50:51], v[4:5] op_sel:[0,0,1] op_sel_hi:[1,1,0]
	v_pk_fma_f32 v[4:5], v[12:13], v[50:51], v[4:5] op_sel:[0,0,1] op_sel_hi:[0,1,0] neg_lo:[1,0,0] neg_hi:[1,0,0]
	v_mov_b32_e32 v12, v61
	v_mov_b32_e32 v4, v21
	v_pk_mul_f32 v[28:29], v[2:3], v[12:13] op_sel_hi:[1,0]
	v_mov_b32_e32 v53, v5
	v_pk_fma_f32 v[50:51], v[4:5], v[2:3], v[28:29] op_sel:[0,0,1] op_sel_hi:[1,1,0]
	v_pk_fma_f32 v[2:3], v[4:5], v[2:3], v[28:29] op_sel:[0,0,1] op_sel_hi:[0,1,0] neg_lo:[1,0,0] neg_hi:[1,0,0]
	v_mov_b32_e32 v51, v3
	v_pk_add_f32 v[2:3], v[46:47], v[52:53] neg_lo:[0,1] neg_hi:[0,1]
	v_pk_add_f32 v[4:5], v[48:49], v[50:51] neg_lo:[0,1] neg_hi:[0,1]
	v_pk_add_f32 v[62:63], v[62:63], v[52:53]
	v_pk_add_f32 v[20:21], v[2:3], v[4:5]
	;; [unrolled: 1-line block ×4, first 2 shown]
	v_pk_fma_f32 v[54:55], v[2:3], 0.5, v[18:19] op_sel_hi:[1,0,1] neg_lo:[1,0,0] neg_hi:[1,0,0]
	global_load_dwordx4 v[2:5], v[34:35], off offset:3024
	global_load_dwordx4 v[28:31], v[34:35], off offset:3008
	v_pk_fma_f32 v[58:59], v[56:57], s[2:3], v[54:55] op_sel:[1,0,0] op_sel_hi:[0,0,1]
	v_pk_fma_f32 v[34:35], v[56:57], s[2:3], v[54:55] op_sel:[1,0,0] op_sel_hi:[0,0,1] neg_lo:[1,0,0] neg_hi:[1,0,0]
	v_pk_add_f32 v[54:55], v[52:53], v[50:51] neg_lo:[0,1] neg_hi:[0,1]
	v_pk_add_f32 v[62:63], v[48:49], v[62:63]
	v_pk_fma_f32 v[34:35], v[54:55], s[4:5], v[34:35] op_sel:[1,0,0] op_sel_hi:[0,0,1] neg_lo:[1,0,0] neg_hi:[1,0,0]
	v_pk_fma_f32 v[58:59], v[54:55], s[4:5], v[58:59] op_sel:[1,0,0] op_sel_hi:[0,0,1]
	v_mov_b32_e32 v60, v58
	v_mov_b32_e32 v61, v35
	;; [unrolled: 1-line block ×3, first 2 shown]
	v_pk_fma_f32 v[60:61], v[20:21], s[0:1], v[60:61] op_sel_hi:[1,0,1]
	v_pk_fma_f32 v[20:21], v[20:21], s[0:1], v[34:35] op_sel_hi:[1,0,1]
	global_store_dwordx2 v[32:33], v[62:63], off
	global_store_dwordx2 v[38:39], v[20:21], off
	v_pk_add_f32 v[20:21], v[52:53], v[46:47] neg_lo:[0,1] neg_hi:[0,1]
	v_pk_add_f32 v[32:33], v[50:51], v[48:49] neg_lo:[0,1] neg_hi:[0,1]
	v_lshrrev_b32_e32 v11, 1, v7
	v_pk_add_f32 v[20:21], v[20:21], v[32:33]
	v_pk_add_f32 v[32:33], v[46:47], v[48:49]
	v_mov_b32_e32 v14, v27
	v_pk_fma_f32 v[18:19], v[32:33], 0.5, v[18:19] op_sel_hi:[1,0,1] neg_lo:[1,0,0] neg_hi:[1,0,0]
	s_waitcnt vmcnt(2)
	v_pk_mul_f32 v[26:27], v[28:29], v[14:15] op_sel_hi:[1,0]
	v_pk_fma_f32 v[32:33], v[54:55], s[2:3], v[18:19] op_sel:[1,0,0] op_sel_hi:[0,0,1] neg_lo:[1,0,0] neg_hi:[1,0,0]
	v_pk_fma_f32 v[18:19], v[54:55], s[2:3], v[18:19] op_sel:[1,0,0] op_sel_hi:[0,0,1]
	s_mov_b32 s3, 0xad602b59
	v_pk_fma_f32 v[18:19], v[56:57], s[4:5], v[18:19] op_sel:[1,0,0] op_sel_hi:[0,0,1] neg_lo:[1,0,0] neg_hi:[1,0,0]
	v_pk_fma_f32 v[32:33], v[56:57], s[4:5], v[32:33] op_sel:[1,0,0] op_sel_hi:[0,0,1]
	v_mul_hi_u32 v11, v11, s3
	v_mov_b32_e32 v35, v19
	v_mov_b32_e32 v19, v33
	v_lshrrev_b32_e32 v11, 7, v11
	v_mov_b32_e32 v34, v32
	v_pk_fma_f32 v[18:19], v[20:21], s[0:1], v[18:19] op_sel_hi:[1,0,1]
	v_mad_u32_u24 v7, v11, s1, v7
	v_pk_fma_f32 v[34:35], v[20:21], s[0:1], v[34:35] op_sel_hi:[1,0,1]
	global_store_dwordx2 v[40:41], v[18:19], off
	global_store_dwordx2 v[42:43], v[34:35], off
	;; [unrolled: 1-line block ×3, first 2 shown]
	v_mad_u64_u32 v[18:19], s[6:7], s8, v7, 0
	v_mov_b32_e32 v12, v19
	v_mad_u64_u32 v[20:21], s[6:7], s9, v7, v[12:13]
	v_add_u32_e32 v11, 0x17a, v7
	v_mov_b32_e32 v19, v20
	v_mad_u64_u32 v[20:21], s[6:7], s8, v11, 0
	v_mov_b32_e32 v12, v21
	v_mad_u64_u32 v[32:33], s[6:7], s9, v11, v[12:13]
	v_add_u32_e32 v11, 0x2f4, v7
	v_mov_b32_e32 v21, v32
	;; [unrolled: 5-line block ×4, first 2 shown]
	v_mad_u64_u32 v[36:37], s[6:7], s8, v7, 0
	v_mov_b32_e32 v12, v37
	v_mad_u64_u32 v[38:39], s[6:7], s9, v7, v[12:13]
	v_mov_b32_e32 v12, v15
	v_mov_b32_e32 v37, v38
	v_pk_fma_f32 v[14:15], v[12:13], v[28:29], v[26:27] op_sel:[0,0,1] op_sel_hi:[0,1,0] neg_lo:[1,0,0] neg_hi:[1,0,0]
	v_lshl_add_u64 v[18:19], v[18:19], 3, v[0:1]
	v_lshl_add_u64 v[20:21], v[20:21], 3, v[0:1]
	;; [unrolled: 1-line block ×5, first 2 shown]
	v_pk_fma_f32 v[36:37], v[12:13], v[28:29], v[26:27] op_sel:[0,0,1] op_sel_hi:[1,1,0]
	v_mov_b32_e32 v14, v25
	v_mov_b32_e32 v37, v15
	;; [unrolled: 1-line block ×3, first 2 shown]
	v_pk_mul_f32 v[14:15], v[4:5], v[14:15] op_sel_hi:[1,0]
	v_pk_mul_f32 v[6:7], v[2:3], v[6:7] op_sel_hi:[1,0]
	v_pk_fma_f32 v[24:25], v[12:13], v[4:5], v[14:15] op_sel:[0,0,1] op_sel_hi:[1,1,0]
	v_pk_fma_f32 v[4:5], v[12:13], v[4:5], v[14:15] op_sel:[0,0,1] op_sel_hi:[0,1,0] neg_lo:[1,0,0] neg_hi:[1,0,0]
	v_mov_b32_e32 v12, v23
	v_mov_b32_e32 v4, v13
	v_pk_mul_f32 v[14:15], v[30:31], v[12:13] op_sel_hi:[1,0]
	v_mov_b32_e32 v12, v13
	v_mov_b32_e32 v25, v5
	v_pk_fma_f32 v[4:5], v[4:5], v[30:31], v[14:15] op_sel:[0,0,1] op_sel_hi:[1,1,0]
	v_pk_fma_f32 v[12:13], v[12:13], v[30:31], v[14:15] op_sel:[0,0,1] op_sel_hi:[0,1,0] neg_lo:[1,0,0] neg_hi:[1,0,0]
	v_mov_b32_e32 v5, v13
	v_pk_fma_f32 v[12:13], v[10:11], v[2:3], v[6:7] op_sel:[0,0,1] op_sel_hi:[1,1,0]
	v_pk_fma_f32 v[2:3], v[10:11], v[2:3], v[6:7] op_sel:[0,0,1] op_sel_hi:[0,1,0] neg_lo:[1,0,0] neg_hi:[1,0,0]
	v_mov_b32_e32 v13, v3
	v_pk_add_f32 v[2:3], v[36:37], v[4:5] neg_lo:[0,1] neg_hi:[0,1]
	v_pk_add_f32 v[6:7], v[24:25], v[12:13] neg_lo:[0,1] neg_hi:[0,1]
	;; [unrolled: 1-line block ×3, first 2 shown]
	v_pk_add_f32 v[2:3], v[2:3], v[6:7]
	v_pk_add_f32 v[6:7], v[4:5], v[12:13]
	v_pk_add_f32 v[16:17], v[4:5], v[12:13] neg_lo:[0,1] neg_hi:[0,1]
	v_pk_fma_f32 v[6:7], v[6:7], 0.5, v[8:9] op_sel_hi:[1,0,1] neg_lo:[1,0,0] neg_hi:[1,0,0]
	v_pk_add_f32 v[26:27], v[8:9], v[36:37]
	v_pk_fma_f32 v[14:15], v[10:11], s[2:3], v[6:7] op_sel:[1,0,0] op_sel_hi:[0,0,1]
	v_pk_fma_f32 v[6:7], v[10:11], s[2:3], v[6:7] op_sel:[1,0,0] op_sel_hi:[0,0,1] neg_lo:[1,0,0] neg_hi:[1,0,0]
	v_pk_fma_f32 v[6:7], v[16:17], s[4:5], v[6:7] op_sel:[1,0,0] op_sel_hi:[0,0,1] neg_lo:[1,0,0] neg_hi:[1,0,0]
	v_pk_fma_f32 v[14:15], v[16:17], s[4:5], v[14:15] op_sel:[1,0,0] op_sel_hi:[0,0,1]
	v_pk_add_f32 v[26:27], v[26:27], v[4:5]
	v_mov_b32_e32 v22, v14
	v_mov_b32_e32 v23, v7
	v_pk_add_f32 v[26:27], v[26:27], v[12:13]
	v_mov_b32_e32 v7, v15
	v_pk_fma_f32 v[22:23], v[2:3], s[0:1], v[22:23] op_sel_hi:[1,0,1]
	v_pk_add_f32 v[26:27], v[24:25], v[26:27]
	v_pk_fma_f32 v[2:3], v[2:3], s[0:1], v[6:7] op_sel_hi:[1,0,1]
	global_store_dwordx2 v[18:19], v[26:27], off
	global_store_dwordx2 v[20:21], v[2:3], off
	v_pk_add_f32 v[2:3], v[36:37], v[24:25]
	v_pk_add_f32 v[4:5], v[4:5], v[36:37] neg_lo:[0,1] neg_hi:[0,1]
	v_pk_fma_f32 v[2:3], v[2:3], 0.5, v[8:9] op_sel_hi:[1,0,1] neg_lo:[1,0,0] neg_hi:[1,0,0]
	v_pk_add_f32 v[6:7], v[12:13], v[24:25] neg_lo:[0,1] neg_hi:[0,1]
	s_nop 0
	v_pk_add_f32 v[4:5], v[4:5], v[6:7]
	v_pk_fma_f32 v[6:7], v[16:17], s[2:3], v[2:3] op_sel:[1,0,0] op_sel_hi:[0,0,1] neg_lo:[1,0,0] neg_hi:[1,0,0]
	v_pk_fma_f32 v[2:3], v[16:17], s[2:3], v[2:3] op_sel:[1,0,0] op_sel_hi:[0,0,1]
	v_pk_fma_f32 v[2:3], v[10:11], s[4:5], v[2:3] op_sel:[1,0,0] op_sel_hi:[0,0,1] neg_lo:[1,0,0] neg_hi:[1,0,0]
	v_pk_fma_f32 v[6:7], v[10:11], s[4:5], v[6:7] op_sel:[1,0,0] op_sel_hi:[0,0,1]
	v_mov_b32_e32 v9, v3
	v_mov_b32_e32 v3, v7
	;; [unrolled: 1-line block ×3, first 2 shown]
	v_pk_fma_f32 v[2:3], v[4:5], s[0:1], v[2:3] op_sel_hi:[1,0,1]
	v_pk_fma_f32 v[8:9], v[4:5], s[0:1], v[8:9] op_sel_hi:[1,0,1]
	global_store_dwordx2 v[32:33], v[2:3], off
	global_store_dwordx2 v[34:35], v[8:9], off
	;; [unrolled: 1-line block ×3, first 2 shown]
.LBB0_29:
	s_endpgm
	.section	.rodata,"a",@progbits
	.p2align	6, 0x0
	.amdhsa_kernel fft_rtc_back_len1890_factors_2_3_3_3_7_5_wgs_126_tpt_126_halfLds_sp_ip_CI_sbrr_dirReg
		.amdhsa_group_segment_fixed_size 0
		.amdhsa_private_segment_fixed_size 0
		.amdhsa_kernarg_size 88
		.amdhsa_user_sgpr_count 2
		.amdhsa_user_sgpr_dispatch_ptr 0
		.amdhsa_user_sgpr_queue_ptr 0
		.amdhsa_user_sgpr_kernarg_segment_ptr 1
		.amdhsa_user_sgpr_dispatch_id 0
		.amdhsa_user_sgpr_kernarg_preload_length 0
		.amdhsa_user_sgpr_kernarg_preload_offset 0
		.amdhsa_user_sgpr_private_segment_size 0
		.amdhsa_uses_dynamic_stack 0
		.amdhsa_enable_private_segment 0
		.amdhsa_system_sgpr_workgroup_id_x 1
		.amdhsa_system_sgpr_workgroup_id_y 0
		.amdhsa_system_sgpr_workgroup_id_z 0
		.amdhsa_system_sgpr_workgroup_info 0
		.amdhsa_system_vgpr_workitem_id 0
		.amdhsa_next_free_vgpr 103
		.amdhsa_next_free_sgpr 24
		.amdhsa_accum_offset 104
		.amdhsa_reserve_vcc 1
		.amdhsa_float_round_mode_32 0
		.amdhsa_float_round_mode_16_64 0
		.amdhsa_float_denorm_mode_32 3
		.amdhsa_float_denorm_mode_16_64 3
		.amdhsa_dx10_clamp 1
		.amdhsa_ieee_mode 1
		.amdhsa_fp16_overflow 0
		.amdhsa_tg_split 0
		.amdhsa_exception_fp_ieee_invalid_op 0
		.amdhsa_exception_fp_denorm_src 0
		.amdhsa_exception_fp_ieee_div_zero 0
		.amdhsa_exception_fp_ieee_overflow 0
		.amdhsa_exception_fp_ieee_underflow 0
		.amdhsa_exception_fp_ieee_inexact 0
		.amdhsa_exception_int_div_zero 0
	.end_amdhsa_kernel
	.text
.Lfunc_end0:
	.size	fft_rtc_back_len1890_factors_2_3_3_3_7_5_wgs_126_tpt_126_halfLds_sp_ip_CI_sbrr_dirReg, .Lfunc_end0-fft_rtc_back_len1890_factors_2_3_3_3_7_5_wgs_126_tpt_126_halfLds_sp_ip_CI_sbrr_dirReg
                                        ; -- End function
	.section	.AMDGPU.csdata,"",@progbits
; Kernel info:
; codeLenInByte = 11136
; NumSgprs: 30
; NumVgprs: 103
; NumAgprs: 0
; TotalNumVgprs: 103
; ScratchSize: 0
; MemoryBound: 0
; FloatMode: 240
; IeeeMode: 1
; LDSByteSize: 0 bytes/workgroup (compile time only)
; SGPRBlocks: 3
; VGPRBlocks: 12
; NumSGPRsForWavesPerEU: 30
; NumVGPRsForWavesPerEU: 103
; AccumOffset: 104
; Occupancy: 4
; WaveLimiterHint : 1
; COMPUTE_PGM_RSRC2:SCRATCH_EN: 0
; COMPUTE_PGM_RSRC2:USER_SGPR: 2
; COMPUTE_PGM_RSRC2:TRAP_HANDLER: 0
; COMPUTE_PGM_RSRC2:TGID_X_EN: 1
; COMPUTE_PGM_RSRC2:TGID_Y_EN: 0
; COMPUTE_PGM_RSRC2:TGID_Z_EN: 0
; COMPUTE_PGM_RSRC2:TIDIG_COMP_CNT: 0
; COMPUTE_PGM_RSRC3_GFX90A:ACCUM_OFFSET: 25
; COMPUTE_PGM_RSRC3_GFX90A:TG_SPLIT: 0
	.text
	.p2alignl 6, 3212836864
	.fill 256, 4, 3212836864
	.type	__hip_cuid_828a280d6c9f978f,@object ; @__hip_cuid_828a280d6c9f978f
	.section	.bss,"aw",@nobits
	.globl	__hip_cuid_828a280d6c9f978f
__hip_cuid_828a280d6c9f978f:
	.byte	0                               ; 0x0
	.size	__hip_cuid_828a280d6c9f978f, 1

	.ident	"AMD clang version 19.0.0git (https://github.com/RadeonOpenCompute/llvm-project roc-6.4.0 25133 c7fe45cf4b819c5991fe208aaa96edf142730f1d)"
	.section	".note.GNU-stack","",@progbits
	.addrsig
	.addrsig_sym __hip_cuid_828a280d6c9f978f
	.amdgpu_metadata
---
amdhsa.kernels:
  - .agpr_count:     0
    .args:
      - .actual_access:  read_only
        .address_space:  global
        .offset:         0
        .size:           8
        .value_kind:     global_buffer
      - .offset:         8
        .size:           8
        .value_kind:     by_value
      - .actual_access:  read_only
        .address_space:  global
        .offset:         16
        .size:           8
        .value_kind:     global_buffer
      - .actual_access:  read_only
        .address_space:  global
        .offset:         24
        .size:           8
        .value_kind:     global_buffer
      - .offset:         32
        .size:           8
        .value_kind:     by_value
      - .actual_access:  read_only
        .address_space:  global
        .offset:         40
        .size:           8
        .value_kind:     global_buffer
      - .actual_access:  read_only
        .address_space:  global
        .offset:         48
        .size:           8
        .value_kind:     global_buffer
      - .offset:         56
        .size:           4
        .value_kind:     by_value
      - .actual_access:  read_only
        .address_space:  global
        .offset:         64
        .size:           8
        .value_kind:     global_buffer
      - .actual_access:  read_only
        .address_space:  global
        .offset:         72
        .size:           8
        .value_kind:     global_buffer
      - .address_space:  global
        .offset:         80
        .size:           8
        .value_kind:     global_buffer
    .group_segment_fixed_size: 0
    .kernarg_segment_align: 8
    .kernarg_segment_size: 88
    .language:       OpenCL C
    .language_version:
      - 2
      - 0
    .max_flat_workgroup_size: 126
    .name:           fft_rtc_back_len1890_factors_2_3_3_3_7_5_wgs_126_tpt_126_halfLds_sp_ip_CI_sbrr_dirReg
    .private_segment_fixed_size: 0
    .sgpr_count:     30
    .sgpr_spill_count: 0
    .symbol:         fft_rtc_back_len1890_factors_2_3_3_3_7_5_wgs_126_tpt_126_halfLds_sp_ip_CI_sbrr_dirReg.kd
    .uniform_work_group_size: 1
    .uses_dynamic_stack: false
    .vgpr_count:     103
    .vgpr_spill_count: 0
    .wavefront_size: 64
amdhsa.target:   amdgcn-amd-amdhsa--gfx950
amdhsa.version:
  - 1
  - 2
...

	.end_amdgpu_metadata
